;; amdgpu-corpus repo=ROCm/rocFFT kind=compiled arch=gfx906 opt=O3
	.text
	.amdgcn_target "amdgcn-amd-amdhsa--gfx906"
	.amdhsa_code_object_version 6
	.protected	bluestein_single_fwd_len1134_dim1_dp_op_CI_CI ; -- Begin function bluestein_single_fwd_len1134_dim1_dp_op_CI_CI
	.globl	bluestein_single_fwd_len1134_dim1_dp_op_CI_CI
	.p2align	8
	.type	bluestein_single_fwd_len1134_dim1_dp_op_CI_CI,@function
bluestein_single_fwd_len1134_dim1_dp_op_CI_CI: ; @bluestein_single_fwd_len1134_dim1_dp_op_CI_CI
; %bb.0:
	s_load_dwordx4 s[12:15], s[4:5], 0x28
	s_mov_b64 s[38:39], s[2:3]
	v_mul_u32_u24_e32 v1, 0x209, v0
	s_mov_b64 s[36:37], s[0:1]
	v_add_u32_sdwa v216, s6, v1 dst_sel:DWORD dst_unused:UNUSED_PAD src0_sel:DWORD src1_sel:WORD_1
	v_mov_b32_e32 v217, 0
	s_add_u32 s36, s36, s7
	s_waitcnt lgkmcnt(0)
	v_cmp_gt_u64_e32 vcc, s[12:13], v[216:217]
	s_addc_u32 s37, s37, 0
	s_and_saveexec_b64 s[0:1], vcc
	s_cbranch_execz .LBB0_23
; %bb.1:
	s_load_dwordx4 s[0:3], s[4:5], 0x18
	s_load_dwordx2 s[16:17], s[4:5], 0x0
	s_waitcnt lgkmcnt(0)
	s_load_dwordx4 s[8:11], s[0:1], 0x0
	s_movk_i32 s0, 0x7e
	v_mul_lo_u16_sdwa v1, v1, s0 dst_sel:DWORD dst_unused:UNUSED_PAD src0_sel:WORD_1 src1_sel:DWORD
	v_sub_u16_e32 v220, v0, v1
	v_lshlrev_b32_e32 v217, 4, v220
	s_waitcnt lgkmcnt(0)
	v_mad_u64_u32 v[0:1], s[0:1], s10, v216, 0
	v_mad_u64_u32 v[2:3], s[0:1], s8, v220, 0
	v_add_co_u32_e64 v218, s[6:7], s16, v217
	v_mad_u64_u32 v[4:5], s[0:1], s11, v216, v[1:2]
	v_mad_u64_u32 v[5:6], s[0:1], s9, v220, v[3:4]
	v_mov_b32_e32 v1, v4
	v_lshlrev_b64 v[0:1], 4, v[0:1]
	v_mov_b32_e32 v6, s15
	v_mov_b32_e32 v3, v5
	v_add_co_u32_e32 v4, vcc, s14, v0
	v_addc_co_u32_e32 v5, vcc, v6, v1, vcc
	v_lshlrev_b64 v[0:1], 4, v[2:3]
	s_mul_i32 s0, s9, 0x237
	s_mul_hi_u32 s1, s8, 0x237
	v_add_co_u32_e32 v0, vcc, v4, v0
	v_mov_b32_e32 v2, s17
	s_add_i32 s1, s1, s0
	s_mul_i32 s0, s8, 0x237
	v_addc_co_u32_e32 v1, vcc, v5, v1, vcc
	v_addc_co_u32_e64 v219, vcc, 0, v2, s[6:7]
	s_lshl_b64 s[14:15], s[0:1], 4
	v_mov_b32_e32 v22, s15
	v_add_co_u32_e32 v2, vcc, s14, v0
	v_addc_co_u32_e32 v3, vcc, v1, v22, vcc
	s_movk_i32 s0, 0x2000
	s_mul_hi_u32 s1, s8, 0xfffffe47
	global_load_dwordx4 v[34:37], v[0:1], off
	global_load_dwordx4 v[38:41], v[2:3], off
	v_add_co_u32_e32 v0, vcc, s0, v218
	s_mul_i32 s0, s9, 0xfffffe47
	s_sub_i32 s1, s1, s8
	s_add_i32 s1, s1, s0
	s_mul_i32 s0, s8, 0xfffffe47
	v_addc_co_u32_e32 v1, vcc, 0, v219, vcc
	s_lshl_b64 s[18:19], s[0:1], 4
	v_mov_b32_e32 v10, s19
	v_add_co_u32_e32 v2, vcc, s18, v2
	v_addc_co_u32_e32 v3, vcc, v3, v10, vcc
	v_add_co_u32_e32 v4, vcc, s14, v2
	v_addc_co_u32_e32 v5, vcc, v3, v22, vcc
	global_load_dwordx4 v[28:31], v217, s[16:17]
	global_load_dwordx4 v[16:19], v217, s[16:17] offset:2016
	global_load_dwordx4 v[42:45], v[2:3], off
	global_load_dwordx4 v[46:49], v[4:5], off
	global_load_dwordx4 v[24:27], v[0:1], off offset:880
	global_load_dwordx4 v[12:15], v[0:1], off offset:2896
	v_add_co_u32_e32 v4, vcc, s18, v4
	v_addc_co_u32_e32 v5, vcc, v5, v10, vcc
	v_add_co_u32_e32 v8, vcc, s14, v4
	v_addc_co_u32_e32 v9, vcc, v5, v22, vcc
	s_movk_i32 s0, 0x3000
	v_add_co_u32_e32 v66, vcc, s0, v218
	v_addc_co_u32_e32 v67, vcc, 0, v219, vcc
	v_add_co_u32_e32 v20, vcc, s18, v8
	v_addc_co_u32_e32 v21, vcc, v9, v10, vcc
	s_movk_i32 s0, 0x1000
	global_load_dwordx4 v[50:53], v[4:5], off
	global_load_dwordx4 v[0:3], v217, s[16:17] offset:4032
	global_load_dwordx4 v[54:57], v[8:9], off
	v_add_co_u32_e32 v8, vcc, s0, v218
	v_addc_co_u32_e32 v9, vcc, 0, v219, vcc
	global_load_dwordx4 v[4:7], v[66:67], off offset:816
	v_add_co_u32_e32 v32, vcc, s14, v20
	global_load_dwordx4 v[58:61], v[20:21], off
	v_addc_co_u32_e32 v33, vcc, v21, v22, vcc
	global_load_dwordx4 v[8:11], v[8:9], off offset:1952
	s_nop 0
	global_load_dwordx4 v[62:65], v[32:33], off
	global_load_dwordx4 v[20:23], v[66:67], off offset:2832
	s_load_dwordx2 s[12:13], s[4:5], 0x38
	s_load_dwordx4 s[8:11], s[2:3], 0x0
	v_cmp_gt_u16_e64 s[0:1], 63, v220
	s_waitcnt vmcnt(13)
	v_mul_f64 v[66:67], v[36:37], v[30:31]
	v_mul_f64 v[68:69], v[34:35], v[30:31]
	s_waitcnt vmcnt(9)
	v_mul_f64 v[70:71], v[40:41], v[26:27]
	v_mul_f64 v[72:73], v[38:39], v[26:27]
	;; [unrolled: 1-line block ×4, first 2 shown]
	s_waitcnt vmcnt(8)
	v_mul_f64 v[78:79], v[48:49], v[14:15]
	v_mul_f64 v[80:81], v[46:47], v[14:15]
	v_fma_f64 v[34:35], v[34:35], v[28:29], v[66:67]
	v_fma_f64 v[36:37], v[36:37], v[28:29], -v[68:69]
	v_fma_f64 v[38:39], v[38:39], v[24:25], v[70:71]
	v_fma_f64 v[40:41], v[40:41], v[24:25], -v[72:73]
	v_fma_f64 v[42:43], v[42:43], v[16:17], v[74:75]
	v_fma_f64 v[44:45], v[44:45], v[16:17], -v[76:77]
	v_fma_f64 v[46:47], v[46:47], v[12:13], v[78:79]
	v_fma_f64 v[48:49], v[48:49], v[12:13], -v[80:81]
	s_waitcnt vmcnt(6)
	v_mul_f64 v[66:67], v[52:53], v[2:3]
	v_mul_f64 v[68:69], v[50:51], v[2:3]
	s_waitcnt vmcnt(4)
	v_mul_f64 v[70:71], v[56:57], v[6:7]
	v_mul_f64 v[72:73], v[54:55], v[6:7]
	v_fma_f64 v[50:51], v[50:51], v[0:1], v[66:67]
	v_fma_f64 v[52:53], v[52:53], v[0:1], -v[68:69]
	s_waitcnt vmcnt(2)
	v_mul_f64 v[74:75], v[60:61], v[10:11]
	v_mul_f64 v[76:77], v[58:59], v[10:11]
	s_waitcnt vmcnt(0)
	v_mul_f64 v[78:79], v[64:65], v[22:23]
	v_mul_f64 v[80:81], v[62:63], v[22:23]
	v_fma_f64 v[54:55], v[54:55], v[4:5], v[70:71]
	v_fma_f64 v[56:57], v[56:57], v[4:5], -v[72:73]
	v_fma_f64 v[58:59], v[58:59], v[8:9], v[74:75]
	v_fma_f64 v[60:61], v[60:61], v[8:9], -v[76:77]
	;; [unrolled: 2-line block ×3, first 2 shown]
	ds_write_b128 v217, v[34:37]
	ds_write_b128 v217, v[38:41] offset:9072
	ds_write_b128 v217, v[42:45] offset:2016
	;; [unrolled: 1-line block ×7, first 2 shown]
	s_and_saveexec_b64 s[2:3], s[0:1]
	s_cbranch_execz .LBB0_3
; %bb.2:
	v_mov_b32_e32 v34, s19
	v_add_co_u32_e32 v40, vcc, s18, v32
	v_addc_co_u32_e32 v41, vcc, v33, v34, vcc
	v_add_co_u32_e32 v36, vcc, 0x1000, v218
	v_addc_co_u32_e32 v37, vcc, 0, v219, vcc
	v_mov_b32_e32 v42, s15
	v_add_co_u32_e32 v48, vcc, s14, v40
	v_addc_co_u32_e32 v49, vcc, v41, v42, vcc
	s_movk_i32 s14, 0x4000
	v_add_co_u32_e32 v50, vcc, s14, v218
	global_load_dwordx4 v[32:35], v[40:41], off
	v_addc_co_u32_e32 v51, vcc, 0, v219, vcc
	global_load_dwordx4 v[36:39], v[36:37], off offset:3968
	s_nop 0
	global_load_dwordx4 v[40:43], v[50:51], off offset:752
	global_load_dwordx4 v[44:47], v[48:49], off
	s_waitcnt vmcnt(2)
	v_mul_f64 v[48:49], v[34:35], v[38:39]
	v_mul_f64 v[38:39], v[32:33], v[38:39]
	s_waitcnt vmcnt(0)
	v_mul_f64 v[50:51], v[46:47], v[42:43]
	v_mul_f64 v[42:43], v[44:45], v[42:43]
	v_fma_f64 v[32:33], v[32:33], v[36:37], v[48:49]
	v_fma_f64 v[34:35], v[34:35], v[36:37], -v[38:39]
	v_fma_f64 v[36:37], v[44:45], v[40:41], v[50:51]
	v_fma_f64 v[38:39], v[46:47], v[40:41], -v[42:43]
	ds_write_b128 v217, v[32:35] offset:8064
	ds_write_b128 v217, v[36:39] offset:17136
.LBB0_3:
	s_or_b64 exec, exec, s[2:3]
	s_waitcnt lgkmcnt(0)
	s_barrier
	ds_read_b128 v[40:43], v217
	ds_read_b128 v[44:47], v217 offset:2016
	ds_read_b128 v[68:71], v217 offset:9072
	;; [unrolled: 1-line block ×7, first 2 shown]
	s_load_dwordx2 s[4:5], s[4:5], 0x8
                                        ; implicit-def: $vgpr32_vgpr33
                                        ; implicit-def: $vgpr52_vgpr53
	s_and_saveexec_b64 s[2:3], s[0:1]
	s_cbranch_execz .LBB0_5
; %bb.4:
	ds_read_b128 v[32:35], v217 offset:8064
	ds_read_b128 v[52:55], v217 offset:17136
.LBB0_5:
	s_or_b64 exec, exec, s[2:3]
	s_waitcnt lgkmcnt(0)
	v_add_f64 v[68:69], v[40:41], -v[68:69]
	v_add_f64 v[70:71], v[42:43], -v[70:71]
	;; [unrolled: 1-line block ×8, first 2 shown]
	v_fma_f64 v[40:41], v[40:41], 2.0, -v[68:69]
	v_fma_f64 v[42:43], v[42:43], 2.0, -v[70:71]
	;; [unrolled: 1-line block ×6, first 2 shown]
	v_add_f64 v[152:153], v[32:33], -v[52:53]
	v_add_f64 v[154:155], v[34:35], -v[54:55]
	v_fma_f64 v[36:37], v[36:37], 2.0, -v[56:57]
	v_fma_f64 v[38:39], v[38:39], 2.0, -v[58:59]
	s_movk_i32 s2, 0x7e
	v_add_co_u32_e32 v184, vcc, s2, v220
	s_movk_i32 s2, 0xfc
	v_add_co_u32_e32 v104, vcc, s2, v220
	s_movk_i32 s2, 0x1f8
	v_lshlrev_b16_e32 v52, 1, v220
	v_add_co_u32_e32 v72, vcc, s2, v220
	v_lshlrev_b32_e32 v52, 4, v52
	v_lshlrev_b32_e32 v223, 5, v184
	;; [unrolled: 1-line block ×4, first 2 shown]
	s_barrier
	ds_write_b128 v52, v[40:43]
	buffer_store_dword v52, off, s[36:39], 0 offset:4 ; 4-byte Folded Spill
	ds_write_b128 v52, v[68:71] offset:16
	ds_write_b128 v223, v[44:47]
	ds_write_b128 v223, v[64:67] offset:16
	ds_write_b128 v224, v[48:51]
	ds_write_b128 v224, v[60:63] offset:16
	ds_write_b128 v225, v[36:39] offset:12096
	;; [unrolled: 1-line block ×3, first 2 shown]
	v_lshlrev_b32_e32 v36, 5, v72
	buffer_store_dword v36, off, s[36:39], 0 ; 4-byte Folded Spill
	s_and_saveexec_b64 s[2:3], s[0:1]
	s_cbranch_execz .LBB0_7
; %bb.6:
	buffer_load_dword v36, off, s[36:39], 0 ; 4-byte Folded Reload
	v_fma_f64 v[34:35], v[34:35], 2.0, -v[154:155]
	v_fma_f64 v[32:33], v[32:33], 2.0, -v[152:153]
	s_waitcnt vmcnt(0)
	ds_write_b128 v36, v[32:35]
	ds_write_b128 v36, v[152:155] offset:16
.LBB0_7:
	s_or_b64 exec, exec, s[2:3]
	v_and_b32_e32 v76, 1, v220
	v_lshlrev_b32_e32 v40, 5, v76
	s_waitcnt vmcnt(0) lgkmcnt(0)
	s_barrier
	global_load_dwordx4 v[36:39], v40, s[4:5]
	global_load_dwordx4 v[32:35], v40, s[4:5] offset:16
	v_lshrrev_b32_e32 v77, 1, v220
	v_lshrrev_b32_e32 v78, 1, v184
	;; [unrolled: 1-line block ×3, first 2 shown]
	s_movk_i32 s16, 0xab
	v_mul_u32_u24_e32 v77, 6, v77
	v_mul_u32_u24_e32 v78, 6, v78
	;; [unrolled: 1-line block ×3, first 2 shown]
	v_mul_lo_u16_sdwa v80, v220, s16 dst_sel:DWORD dst_unused:UNUSED_PAD src0_sel:BYTE_0 src1_sel:DWORD
	v_or_b32_e32 v77, v77, v76
	v_or_b32_e32 v78, v78, v76
	;; [unrolled: 1-line block ×3, first 2 shown]
	v_lshrrev_b16_e32 v103, 10, v80
	v_lshlrev_b32_e32 v226, 4, v76
	v_mul_lo_u16_e32 v76, 6, v103
	ds_read_b128 v[40:43], v217
	ds_read_b128 v[44:47], v217 offset:2016
	ds_read_b128 v[48:51], v217 offset:12096
	;; [unrolled: 1-line block ×8, first 2 shown]
	v_sub_u16_e32 v76, v220, v76
	v_lshlrev_b32_e32 v228, 4, v77
	v_lshlrev_b32_e32 v227, 4, v78
	v_and_b32_e32 v106, 0xff, v76
	s_mov_b32 s2, 0xe8584caa
	s_mov_b32 s3, 0x3febb67a
	;; [unrolled: 1-line block ×4, first 2 shown]
	v_mul_lo_u16_sdwa v102, v184, s16 dst_sel:DWORD dst_unused:UNUSED_PAD src0_sel:BYTE_0 src1_sel:DWORD
	s_waitcnt vmcnt(0) lgkmcnt(0)
	s_barrier
	v_lshlrev_b32_e32 v105, 5, v106
	s_mov_b32 s16, 0xaaab
	v_mov_b32_e32 v128, 57
	v_mul_f64 v[76:77], v[58:59], v[38:39]
	v_mul_f64 v[78:79], v[56:57], v[38:39]
	;; [unrolled: 1-line block ×12, first 2 shown]
	v_fma_f64 v[56:57], v[56:57], v[36:37], -v[76:77]
	v_fma_f64 v[58:59], v[58:59], v[36:37], v[78:79]
	v_fma_f64 v[48:49], v[48:49], v[32:33], -v[80:81]
	v_fma_f64 v[50:51], v[50:51], v[32:33], v[82:83]
	;; [unrolled: 2-line block ×6, first 2 shown]
	v_add_f64 v[78:79], v[56:57], v[48:49]
	v_add_f64 v[80:81], v[58:59], -v[50:51]
	v_add_f64 v[82:83], v[42:43], v[58:59]
	v_add_f64 v[58:59], v[58:59], v[50:51]
	;; [unrolled: 1-line block ×4, first 2 shown]
	v_add_f64 v[88:89], v[66:67], -v[54:55]
	v_add_f64 v[90:91], v[46:47], v[66:67]
	v_add_f64 v[66:67], v[66:67], v[54:55]
	v_add_f64 v[84:85], v[56:57], -v[48:49]
	v_add_f64 v[56:57], v[44:45], v[64:65]
	v_add_f64 v[92:93], v[64:65], -v[52:53]
	v_add_f64 v[64:65], v[60:61], v[68:69]
	v_add_f64 v[94:95], v[68:69], v[72:73]
	v_add_f64 v[96:97], v[70:71], -v[74:75]
	v_add_f64 v[98:99], v[62:63], v[70:71]
	v_add_f64 v[70:71], v[70:71], v[74:75]
	v_add_f64 v[100:101], v[68:69], -v[72:73]
	v_fma_f64 v[68:69], v[78:79], -0.5, v[40:41]
	v_fma_f64 v[58:59], v[58:59], -0.5, v[42:43]
	v_add_f64 v[48:49], v[76:77], v[48:49]
	v_fma_f64 v[76:77], v[86:87], -0.5, v[44:45]
	v_fma_f64 v[66:67], v[66:67], -0.5, v[46:47]
	v_add_f64 v[44:45], v[64:65], v[72:73]
	v_fma_f64 v[72:73], v[94:95], -0.5, v[60:61]
	v_add_f64 v[46:47], v[98:99], v[74:75]
	;; [unrolled: 2-line block ×3, first 2 shown]
	v_add_f64 v[40:41], v[56:57], v[52:53]
	v_add_f64 v[42:43], v[90:91], v[54:55]
	v_fma_f64 v[52:53], v[80:81], s[2:3], v[68:69]
	v_fma_f64 v[54:55], v[84:85], s[14:15], v[58:59]
	;; [unrolled: 1-line block ×12, first 2 shown]
	ds_write_b128 v228, v[48:51]
	ds_write_b128 v228, v[52:55] offset:32
	ds_write_b128 v228, v[56:59] offset:64
	ds_write_b128 v227, v[40:43]
	ds_write_b128 v227, v[60:63] offset:32
	ds_write_b128 v227, v[64:67] offset:64
	;; [unrolled: 3-line block ×3, first 2 shown]
	v_lshrrev_b16_e32 v66, 10, v102
	v_mul_lo_u16_e32 v40, 6, v66
	v_sub_u16_e32 v40, v184, v40
	v_and_b32_e32 v67, 0xff, v40
	v_lshlrev_b32_e32 v48, 5, v67
	s_waitcnt lgkmcnt(0)
	s_barrier
	global_load_dwordx4 v[44:47], v105, s[4:5] offset:80
	global_load_dwordx4 v[56:59], v105, s[4:5] offset:64
	;; [unrolled: 1-line block ×4, first 2 shown]
	v_mul_u32_u24_sdwa v48, v104, s16 dst_sel:DWORD dst_unused:UNUSED_PAD src0_sel:WORD_0 src1_sel:DWORD
	v_lshrrev_b32_e32 v68, 18, v48
	v_mul_lo_u16_e32 v48, 6, v68
	v_sub_u16_e32 v69, v104, v48
	v_lshlrev_b16_e32 v48, 5, v69
	v_mov_b32_e32 v105, s5
	v_add_co_u32_e32 v64, vcc, s4, v48
	v_addc_co_u32_e32 v65, vcc, 0, v105, vcc
	global_load_dwordx4 v[60:63], v[64:65], off offset:64
	global_load_dwordx4 v[48:51], v[64:65], off offset:80
	v_mul_lo_u16_sdwa v64, v220, v128 dst_sel:DWORD dst_unused:UNUSED_PAD src0_sel:BYTE_0 src1_sel:DWORD
	v_lshrrev_b16_e32 v129, 10, v64
	v_mul_u32_u24_e32 v64, 18, v103
	v_mul_u32_u24_e32 v65, 18, v66
	v_mad_legacy_u16 v66, v68, 18, v69
	v_add_lshl_u32 v232, v64, v106, 4
	v_add_lshl_u32 v230, v65, v67, 4
	v_lshlrev_b32_e32 v229, 4, v66
	ds_read_b128 v[64:67], v217
	ds_read_b128 v[68:71], v217 offset:2016
	ds_read_b128 v[72:75], v217 offset:12096
	;; [unrolled: 1-line block ×8, first 2 shown]
	s_waitcnt vmcnt(0) lgkmcnt(0)
	s_barrier
	v_mul_lo_u16_e32 v130, 18, v129
	s_mov_b32 s16, 0xe38f
	v_mul_f64 v[106:107], v[74:75], v[46:47]
	v_mul_f64 v[100:101], v[82:83], v[58:59]
	;; [unrolled: 1-line block ×8, first 2 shown]
	v_fma_f64 v[72:73], v[72:73], v[44:45], -v[106:107]
	v_fma_f64 v[80:81], v[80:81], v[56:57], -v[100:101]
	v_fma_f64 v[82:83], v[82:83], v[56:57], v[102:103]
	v_fma_f64 v[74:75], v[74:75], v[44:45], v[108:109]
	v_mul_f64 v[118:119], v[94:95], v[62:63]
	v_mul_f64 v[120:121], v[92:93], v[62:63]
	;; [unrolled: 1-line block ×4, first 2 shown]
	v_fma_f64 v[88:89], v[88:89], v[52:53], -v[110:111]
	v_fma_f64 v[90:91], v[90:91], v[52:53], v[112:113]
	v_fma_f64 v[76:77], v[76:77], v[40:41], -v[114:115]
	v_fma_f64 v[78:79], v[78:79], v[40:41], v[116:117]
	;; [unrolled: 2-line block ×4, first 2 shown]
	v_add_f64 v[102:103], v[80:81], v[72:73]
	v_add_f64 v[106:107], v[82:83], -v[74:75]
	v_add_f64 v[108:109], v[66:67], v[82:83]
	v_add_f64 v[82:83], v[82:83], v[74:75]
	;; [unrolled: 1-line block ×4, first 2 shown]
	v_add_f64 v[114:115], v[90:91], -v[78:79]
	v_add_f64 v[116:117], v[70:71], v[90:91]
	v_add_f64 v[90:91], v[90:91], v[78:79]
	v_add_f64 v[110:111], v[80:81], -v[72:73]
	v_add_f64 v[80:81], v[68:69], v[88:89]
	v_add_f64 v[118:119], v[88:89], -v[76:77]
	v_add_f64 v[88:89], v[84:85], v[92:93]
	v_add_f64 v[120:121], v[92:93], v[96:97]
	v_add_f64 v[122:123], v[94:95], -v[98:99]
	v_add_f64 v[124:125], v[86:87], v[94:95]
	v_add_f64 v[94:95], v[94:95], v[98:99]
	v_add_f64 v[126:127], v[92:93], -v[96:97]
	v_fma_f64 v[92:93], v[102:103], -0.5, v[64:65]
	v_fma_f64 v[82:83], v[82:83], -0.5, v[66:67]
	v_add_f64 v[72:73], v[100:101], v[72:73]
	v_fma_f64 v[100:101], v[112:113], -0.5, v[68:69]
	v_fma_f64 v[90:91], v[90:91], -0.5, v[70:71]
	v_add_f64 v[68:69], v[88:89], v[96:97]
	v_fma_f64 v[96:97], v[120:121], -0.5, v[84:85]
	v_add_f64 v[70:71], v[124:125], v[98:99]
	;; [unrolled: 2-line block ×3, first 2 shown]
	v_add_f64 v[64:65], v[80:81], v[76:77]
	v_add_f64 v[66:67], v[116:117], v[78:79]
	v_fma_f64 v[76:77], v[106:107], s[2:3], v[92:93]
	v_fma_f64 v[78:79], v[110:111], s[14:15], v[82:83]
	;; [unrolled: 1-line block ×12, first 2 shown]
	ds_write_b128 v232, v[72:75]
	ds_write_b128 v232, v[76:79] offset:96
	ds_write_b128 v232, v[80:83] offset:192
	ds_write_b128 v230, v[64:67]
	ds_write_b128 v230, v[84:87] offset:96
	ds_write_b128 v230, v[88:91] offset:192
	;; [unrolled: 3-line block ×3, first 2 shown]
	v_mul_lo_u16_sdwa v72, v184, v128 dst_sel:DWORD dst_unused:UNUSED_PAD src0_sel:BYTE_0 src1_sel:DWORD
	v_lshrrev_b16_e32 v91, 10, v72
	v_mul_lo_u16_e32 v72, 18, v91
	v_sub_u16_e32 v64, v220, v130
	v_sub_u16_e32 v72, v184, v72
	v_and_b32_e32 v90, 0xff, v64
	v_and_b32_e32 v92, 0xff, v72
	v_lshlrev_b32_e32 v68, 5, v90
	v_lshlrev_b32_e32 v76, 5, v92
	s_waitcnt lgkmcnt(0)
	s_barrier
	global_load_dwordx4 v[64:67], v68, s[4:5] offset:272
	s_nop 0
	global_load_dwordx4 v[68:71], v68, s[4:5] offset:256
	s_nop 0
	global_load_dwordx4 v[72:75], v76, s[4:5] offset:272
	global_load_dwordx4 v[80:83], v76, s[4:5] offset:256
	v_mul_u32_u24_sdwa v76, v104, s16 dst_sel:DWORD dst_unused:UNUSED_PAD src0_sel:WORD_0 src1_sel:DWORD
	v_lshrrev_b32_e32 v93, 20, v76
	v_mul_lo_u16_e32 v76, 18, v93
	v_sub_u16_e32 v94, v104, v76
	v_lshlrev_b16_e32 v76, 5, v94
	v_add_co_u32_e32 v88, vcc, s4, v76
	v_addc_co_u32_e32 v89, vcc, 0, v105, vcc
	global_load_dwordx4 v[84:87], v[88:89], off offset:256
	global_load_dwordx4 v[76:79], v[88:89], off offset:272
	v_mul_u32_u24_e32 v88, 54, v129
	v_mul_u32_u24_e32 v89, 54, v91
	v_mad_legacy_u16 v91, v93, 54, v94
	v_add_lshl_u32 v234, v88, v90, 4
	v_add_lshl_u32 v233, v89, v92, 4
	v_lshlrev_b32_e32 v231, 4, v91
	ds_read_b128 v[88:91], v217
	ds_read_b128 v[92:95], v217 offset:2016
	ds_read_b128 v[96:99], v217 offset:12096
	;; [unrolled: 1-line block ×8, first 2 shown]
	s_waitcnt vmcnt(0) lgkmcnt(0)
	s_barrier
	s_movk_i32 s16, 0xa2
	v_mul_f64 v[130:131], v[98:99], v[66:67]
	v_mul_f64 v[126:127], v[108:109], v[70:71]
	;; [unrolled: 1-line block ×8, first 2 shown]
	v_fma_f64 v[96:97], v[96:97], v[64:65], -v[130:131]
	v_fma_f64 v[106:107], v[106:107], v[68:69], -v[126:127]
	v_fma_f64 v[108:109], v[108:109], v[68:69], v[128:129]
	v_mul_f64 v[142:143], v[120:121], v[86:87]
	v_mul_f64 v[144:145], v[118:119], v[86:87]
	v_mul_f64 v[146:147], v[124:125], v[78:79]
	v_mul_f64 v[148:149], v[122:123], v[78:79]
	v_fma_f64 v[98:99], v[98:99], v[64:65], v[132:133]
	v_fma_f64 v[114:115], v[114:115], v[80:81], -v[134:135]
	v_fma_f64 v[116:117], v[116:117], v[80:81], v[136:137]
	v_fma_f64 v[100:101], v[100:101], v[72:73], -v[138:139]
	;; [unrolled: 2-line block ×4, first 2 shown]
	v_fma_f64 v[124:125], v[124:125], v[76:77], v[148:149]
	v_add_f64 v[128:129], v[90:91], v[108:109]
	v_add_f64 v[130:131], v[106:107], v[96:97]
	v_add_f64 v[132:133], v[108:109], -v[98:99]
	v_add_f64 v[108:109], v[108:109], v[98:99]
	v_add_f64 v[126:127], v[88:89], v[106:107]
	v_add_f64 v[134:135], v[106:107], -v[96:97]
	v_add_f64 v[106:107], v[114:115], v[100:101]
	v_add_f64 v[136:137], v[116:117], v[102:103]
	;; [unrolled: 1-line block ×8, first 2 shown]
	v_add_f64 v[150:151], v[114:115], -v[100:101]
	v_fma_f64 v[114:115], v[130:131], -0.5, v[88:89]
	v_fma_f64 v[108:109], v[108:109], -0.5, v[90:91]
	v_add_f64 v[116:117], v[116:117], -v[102:103]
	v_add_f64 v[156:157], v[118:119], -v[122:123]
	v_add_f64 v[96:97], v[126:127], v[96:97]
	v_fma_f64 v[118:119], v[106:107], -0.5, v[92:93]
	v_fma_f64 v[126:127], v[136:137], -0.5, v[94:95]
	v_add_f64 v[120:121], v[120:121], -v[124:125]
	v_add_f64 v[92:93], v[142:143], v[122:123]
	v_fma_f64 v[122:123], v[144:145], -0.5, v[110:111]
	v_add_f64 v[94:95], v[146:147], v[124:125]
	v_fma_f64 v[124:125], v[148:149], -0.5, v[112:113]
	v_add_f64 v[98:99], v[128:129], v[98:99]
	v_add_f64 v[90:91], v[138:139], v[102:103]
	;; [unrolled: 1-line block ×3, first 2 shown]
	v_fma_f64 v[100:101], v[132:133], s[2:3], v[114:115]
	v_fma_f64 v[102:103], v[134:135], s[14:15], v[108:109]
	;; [unrolled: 1-line block ×12, first 2 shown]
	ds_write_b128 v234, v[96:99]
	ds_write_b128 v234, v[100:103] offset:288
	ds_write_b128 v234, v[106:109] offset:576
	ds_write_b128 v233, v[88:91]
	ds_write_b128 v233, v[110:113] offset:288
	ds_write_b128 v233, v[114:117] offset:576
	;; [unrolled: 3-line block ×3, first 2 shown]
	v_lshrrev_b16_e32 v106, 1, v104
	v_mov_b32_e32 v96, 19
	v_mul_u32_u24_e32 v106, 0x97b5, v106
	v_mul_lo_u16_sdwa v88, v220, v96 dst_sel:DWORD dst_unused:UNUSED_PAD src0_sel:BYTE_0 src1_sel:DWORD
	v_mul_lo_u16_sdwa v96, v184, v96 dst_sel:DWORD dst_unused:UNUSED_PAD src0_sel:BYTE_0 src1_sel:DWORD
	v_lshrrev_b32_e32 v116, 20, v106
	v_lshrrev_b16_e32 v112, 10, v88
	v_lshrrev_b16_e32 v114, 10, v96
	v_mul_lo_u16_e32 v106, 54, v116
	v_mul_lo_u16_e32 v88, 54, v112
	;; [unrolled: 1-line block ×3, first 2 shown]
	v_sub_u16_e32 v117, v104, v106
	v_sub_u16_e32 v88, v220, v88
	;; [unrolled: 1-line block ×3, first 2 shown]
	v_lshlrev_b16_e32 v104, 5, v117
	v_and_b32_e32 v113, 0xff, v88
	v_and_b32_e32 v115, 0xff, v96
	v_add_co_u32_e32 v108, vcc, s4, v104
	v_lshlrev_b32_e32 v88, 5, v113
	v_lshlrev_b32_e32 v96, 5, v115
	v_addc_co_u32_e32 v109, vcc, 0, v105, vcc
	s_waitcnt lgkmcnt(0)
	s_barrier
	global_load_dwordx4 v[92:95], v88, s[4:5] offset:832
	s_nop 0
	global_load_dwordx4 v[88:91], v88, s[4:5] offset:848
	s_nop 0
	;; [unrolled: 2-line block ×4, first 2 shown]
	global_load_dwordx4 v[104:107], v[108:109], off offset:832
	s_nop 0
	global_load_dwordx4 v[108:111], v[108:109], off offset:848
	v_mul_u32_u24_e32 v112, 0xa2, v112
	v_mul_u32_u24_e32 v114, 0xa2, v114
	v_mad_legacy_u16 v180, v116, s16, v117
	v_add_lshl_u32 v236, v112, v113, 4
	v_add_lshl_u32 v235, v114, v115, 4
	ds_read_b128 v[112:115], v217 offset:12096
	ds_read_b128 v[116:119], v217 offset:14112
	;; [unrolled: 1-line block ×5, first 2 shown]
	ds_read_b128 v[132:135], v217
	ds_read_b128 v[136:139], v217 offset:2016
	ds_read_b128 v[140:143], v217 offset:6048
	;; [unrolled: 1-line block ×3, first 2 shown]
	v_lshlrev_b32_e32 v237, 4, v180
	s_waitcnt vmcnt(0) lgkmcnt(0)
	s_barrier
	s_waitcnt lgkmcnt(0)
                                        ; implicit-def: $vgpr180_vgpr181
	v_mul_f64 v[148:149], v[142:143], v[94:95]
	v_mul_f64 v[150:151], v[140:141], v[94:95]
	;; [unrolled: 1-line block ×12, first 2 shown]
	v_fma_f64 v[140:141], v[140:141], v[92:93], -v[148:149]
	v_fma_f64 v[142:143], v[142:143], v[92:93], v[150:151]
	v_fma_f64 v[112:113], v[112:113], v[88:89], -v[156:157]
	v_fma_f64 v[114:115], v[114:115], v[88:89], v[158:159]
	;; [unrolled: 2-line block ×6, first 2 shown]
	v_add_f64 v[148:149], v[140:141], v[112:113]
	v_add_f64 v[150:151], v[142:143], v[114:115]
	;; [unrolled: 1-line block ×6, first 2 shown]
	v_add_f64 v[168:169], v[122:123], -v[118:119]
	v_add_f64 v[170:171], v[120:121], -v[116:117]
	v_add_f64 v[120:121], v[124:125], v[128:129]
	v_add_f64 v[122:123], v[126:127], v[130:131]
	v_add_f64 v[156:157], v[134:135], v[142:143]
	v_add_f64 v[158:159], v[132:133], v[140:141]
	v_add_f64 v[172:173], v[146:147], v[126:127]
	v_add_f64 v[174:175], v[144:145], v[124:125]
	v_add_f64 v[142:143], v[142:143], -v[114:115]
	v_add_f64 v[140:141], v[140:141], -v[112:113]
	;; [unrolled: 1-line block ×4, first 2 shown]
	v_fma_f64 v[126:127], v[148:149], -0.5, v[132:133]
	v_fma_f64 v[132:133], v[150:151], -0.5, v[134:135]
	;; [unrolled: 1-line block ×6, first 2 shown]
	v_add_f64 v[114:115], v[156:157], v[114:115]
	v_add_f64 v[112:113], v[158:159], v[112:113]
	;; [unrolled: 1-line block ×4, first 2 shown]
	v_fma_f64 v[124:125], v[142:143], s[2:3], v[126:127]
	v_fma_f64 v[128:129], v[142:143], s[14:15], v[126:127]
	v_fma_f64 v[126:127], v[140:141], s[14:15], v[132:133]
	v_fma_f64 v[160:161], v[176:177], s[2:3], v[144:145]
	v_fma_f64 v[162:163], v[178:179], s[14:15], v[146:147]
	v_fma_f64 v[130:131], v[140:141], s[2:3], v[132:133]
	v_fma_f64 v[156:157], v[176:177], s[14:15], v[144:145]
	v_fma_f64 v[158:159], v[178:179], s[2:3], v[146:147]
	v_add_f64 v[118:119], v[164:165], v[118:119]
	v_add_f64 v[116:117], v[166:167], v[116:117]
	v_fma_f64 v[132:133], v[168:169], s[2:3], v[134:135]
	v_fma_f64 v[136:137], v[168:169], s[14:15], v[134:135]
	;; [unrolled: 1-line block ×4, first 2 shown]
	ds_write_b128 v236, v[112:115]
	ds_write_b128 v236, v[124:127] offset:864
	ds_write_b128 v236, v[128:131] offset:1728
	ds_write_b128 v235, v[116:119]
	ds_write_b128 v235, v[132:135] offset:864
	ds_write_b128 v235, v[136:139] offset:1728
	;; [unrolled: 3-line block ×3, first 2 shown]
	s_waitcnt lgkmcnt(0)
	s_barrier
	ds_read_b128 v[164:167], v217
	ds_read_b128 v[148:151], v217 offset:2592
	ds_read_b128 v[140:143], v217 offset:5184
	;; [unrolled: 1-line block ×6, first 2 shown]
	v_cmp_gt_u16_e64 s[2:3], 36, v220
                                        ; implicit-def: $vgpr176_vgpr177
                                        ; implicit-def: $vgpr168_vgpr169
                                        ; implicit-def: $vgpr172_vgpr173
	s_and_saveexec_b64 s[14:15], s[2:3]
	s_cbranch_execz .LBB0_9
; %bb.8:
	ds_read_b128 v[160:163], v217 offset:2016
	ds_read_b128 v[156:159], v217 offset:4608
	ds_read_b128 v[152:155], v217 offset:7200
	ds_read_b128 v[176:179], v217 offset:9792
	ds_read_b128 v[180:183], v217 offset:12384
	ds_read_b128 v[168:171], v217 offset:14976
	ds_read_b128 v[172:175], v217 offset:17568
.LBB0_9:
	s_or_b64 exec, exec, s[14:15]
	v_mov_b32_e32 v121, s5
	s_movk_i32 s14, 0x60
	v_mov_b32_e32 v120, s4
	v_mad_u64_u32 v[185:186], s[14:15], v220, s14, v[120:121]
	s_mov_b32 s14, 0x36b3c0b5
	global_load_dwordx4 v[120:123], v[185:186], off offset:2608
	global_load_dwordx4 v[128:131], v[185:186], off offset:2592
	;; [unrolled: 1-line block ×4, first 2 shown]
	s_mov_b32 s20, 0xe976ee23
	s_mov_b32 s18, 0x429ad128
	;; [unrolled: 1-line block ×17, first 2 shown]
	s_waitcnt vmcnt(0) lgkmcnt(5)
	v_mul_f64 v[187:188], v[150:151], v[138:139]
	v_fma_f64 v[198:199], v[148:149], v[136:137], -v[187:188]
	v_mul_f64 v[148:149], v[148:149], v[138:139]
	v_fma_f64 v[200:201], v[150:151], v[136:137], v[148:149]
	s_waitcnt lgkmcnt(4)
	v_mul_f64 v[148:149], v[142:143], v[134:135]
	v_fma_f64 v[202:203], v[140:141], v[132:133], -v[148:149]
	v_mul_f64 v[140:141], v[140:141], v[134:135]
	v_fma_f64 v[204:205], v[142:143], v[132:133], v[140:141]
	s_waitcnt lgkmcnt(3)
	;; [unrolled: 5-line block ×3, first 2 shown]
	v_mul_f64 v[140:141], v[126:127], v[122:123]
	v_fma_f64 v[210:211], v[124:125], v[120:121], -v[140:141]
	global_load_dwordx4 v[148:151], v[185:186], off offset:2640
	global_load_dwordx4 v[140:143], v[185:186], off offset:2624
	v_mul_f64 v[124:125], v[124:125], v[122:123]
	v_fma_f64 v[212:213], v[126:127], v[120:121], v[124:125]
	v_add_f64 v[244:245], v[208:209], v[212:213]
	s_waitcnt vmcnt(0) lgkmcnt(1)
	v_mul_f64 v[124:125], v[118:119], v[142:143]
	v_fma_f64 v[185:186], v[116:117], v[140:141], -v[124:125]
	v_mul_f64 v[116:117], v[116:117], v[142:143]
	v_fma_f64 v[214:215], v[118:119], v[140:141], v[116:117]
	s_waitcnt lgkmcnt(0)
	v_mul_f64 v[116:117], v[114:115], v[150:151]
	v_fma_f64 v[238:239], v[112:113], v[148:149], -v[116:117]
	v_mul_f64 v[112:113], v[112:113], v[150:151]
	v_fma_f64 v[240:241], v[114:115], v[148:149], v[112:113]
	v_subrev_u32_e32 v112, 36, v220
	v_cndmask_b32_e64 v112, v112, v184, s[2:3]
	v_mul_hi_i32_i24_e32 v113, 0x60, v112
	v_mul_i32_i24_e32 v112, 0x60, v112
	v_add_co_u32_e32 v242, vcc, s4, v112
	v_mov_b32_e32 v112, s5
	v_addc_co_u32_e32 v243, vcc, v112, v113, vcc
	global_load_dwordx4 v[112:115], v[242:243], off offset:2608
	global_load_dwordx4 v[116:119], v[242:243], off offset:2592
	;; [unrolled: 1-line block ×4, first 2 shown]
	s_mov_b32 s4, 0x37e14327
	s_mov_b32 s5, 0x3fe948f6
	s_waitcnt vmcnt(0)
	v_mul_f64 v[187:188], v[158:159], v[146:147]
	v_fma_f64 v[188:189], v[156:157], v[144:145], -v[187:188]
	v_mul_f64 v[156:157], v[156:157], v[146:147]
	v_fma_f64 v[194:195], v[158:159], v[144:145], v[156:157]
	v_mul_f64 v[156:157], v[154:155], v[126:127]
	v_fma_f64 v[190:191], v[152:153], v[124:125], -v[156:157]
	v_mul_f64 v[152:153], v[152:153], v[126:127]
	v_fma_f64 v[196:197], v[154:155], v[124:125], v[152:153]
	;; [unrolled: 4-line block ×4, first 2 shown]
	global_load_dwordx4 v[152:155], v[242:243], off offset:2640
	global_load_dwordx4 v[156:159], v[242:243], off offset:2624
	v_add_f64 v[242:243], v[200:201], v[240:241]
	s_waitcnt vmcnt(0)
	v_mul_f64 v[182:183], v[170:171], v[158:159]
	v_fma_f64 v[182:183], v[168:169], v[156:157], -v[182:183]
	v_mul_f64 v[168:169], v[168:169], v[158:159]
	v_fma_f64 v[168:169], v[170:171], v[156:157], v[168:169]
	v_mul_f64 v[170:171], v[174:175], v[154:155]
	v_fma_f64 v[170:171], v[172:173], v[152:153], -v[170:171]
	v_mul_f64 v[172:173], v[172:173], v[154:155]
	v_fma_f64 v[172:173], v[174:175], v[152:153], v[172:173]
	v_add_f64 v[174:175], v[198:199], v[238:239]
	v_add_f64 v[198:199], v[198:199], -v[238:239]
	v_add_f64 v[238:239], v[200:201], -v[240:241]
	v_add_f64 v[200:201], v[202:203], v[185:186]
	v_add_f64 v[240:241], v[204:205], v[214:215]
	v_add_f64 v[184:185], v[202:203], -v[185:186]
	v_add_f64 v[186:187], v[204:205], -v[214:215]
	v_add_f64 v[214:215], v[206:207], v[210:211]
	v_add_f64 v[202:203], v[210:211], -v[206:207]
	v_add_f64 v[206:207], v[212:213], -v[208:209]
	v_add_f64 v[212:213], v[200:201], v[174:175]
	v_add_f64 v[246:247], v[240:241], v[242:243]
	v_add_f64 v[210:211], v[200:201], -v[174:175]
	v_add_f64 v[204:205], v[240:241], -v[242:243]
	v_add_f64 v[248:249], v[174:175], -v[214:215]
	v_add_f64 v[242:243], v[242:243], -v[244:245]
	v_add_f64 v[250:251], v[214:215], -v[200:201]
	v_add_f64 v[240:241], v[244:245], -v[240:241]
	v_add_f64 v[174:175], v[202:203], v[184:185]
	v_add_f64 v[252:253], v[206:207], v[186:187]
	v_add_f64 v[254:255], v[202:203], -v[184:185]
	v_add_f64 v[221:222], v[206:207], -v[186:187]
	;; [unrolled: 1-line block ×6, first 2 shown]
	v_add_f64 v[212:213], v[214:215], v[212:213]
	v_add_f64 v[214:215], v[244:245], v[246:247]
	;; [unrolled: 1-line block ×4, first 2 shown]
	v_mul_f64 v[238:239], v[250:251], s[14:15]
	v_mul_f64 v[244:245], v[254:255], s[20:21]
	;; [unrolled: 1-line block ×4, first 2 shown]
	v_add_f64 v[184:185], v[164:165], v[212:213]
	v_add_f64 v[186:187], v[166:167], v[214:215]
	v_mul_f64 v[164:165], v[248:249], s[4:5]
	v_mul_f64 v[166:167], v[242:243], s[4:5]
	;; [unrolled: 1-line block ×4, first 2 shown]
	v_fma_f64 v[238:239], v[210:211], s[24:25], -v[238:239]
	v_fma_f64 v[206:207], v[206:207], s[18:19], -v[244:245]
	v_fma_f64 v[212:213], v[212:213], s[22:23], v[184:185]
	v_fma_f64 v[214:215], v[214:215], s[22:23], v[186:187]
	v_fma_f64 v[250:251], v[250:251], s[14:15], v[164:165]
	v_fma_f64 v[240:241], v[240:241], s[14:15], v[166:167]
	v_fma_f64 v[242:243], v[204:205], s[24:25], -v[242:243]
	v_fma_f64 v[164:165], v[210:211], s[26:27], -v[164:165]
	;; [unrolled: 1-line block ×3, first 2 shown]
	v_fma_f64 v[204:205], v[200:201], s[30:31], v[244:245]
	v_fma_f64 v[210:211], v[202:203], s[30:31], v[221:222]
	v_fma_f64 v[208:209], v[208:209], s[18:19], -v[221:222]
	v_fma_f64 v[200:201], v[200:201], s[34:35], -v[246:247]
	;; [unrolled: 1-line block ×3, first 2 shown]
	v_add_f64 v[221:222], v[250:251], v[212:213]
	v_add_f64 v[244:245], v[240:241], v[214:215]
	;; [unrolled: 1-line block ×6, first 2 shown]
	v_fma_f64 v[242:243], v[174:175], s[28:29], v[210:211]
	v_fma_f64 v[212:213], v[198:199], s[28:29], v[206:207]
	;; [unrolled: 1-line block ×6, first 2 shown]
	v_add_f64 v[198:199], v[242:243], v[221:222]
	v_add_f64 v[208:209], v[212:213], v[240:241]
	v_add_f64 v[206:207], v[238:239], -v[210:211]
	v_add_f64 v[204:205], v[166:167], -v[246:247]
	v_add_f64 v[202:203], v[174:175], v[164:165]
	v_add_f64 v[210:211], v[210:211], v[238:239]
	v_add_f64 v[212:213], v[240:241], -v[212:213]
	v_add_f64 v[238:239], v[164:165], -v[174:175]
	v_add_f64 v[240:241], v[246:247], v[166:167]
	v_add_f64 v[164:165], v[188:189], v[170:171]
	v_add_f64 v[166:167], v[194:195], v[172:173]
	v_add_f64 v[170:171], v[188:189], -v[170:171]
	v_add_f64 v[174:175], v[190:191], v[182:183]
	v_add_f64 v[188:189], v[196:197], v[168:169]
	v_add_f64 v[172:173], v[194:195], -v[172:173]
	v_add_f64 v[182:183], v[190:191], -v[182:183]
	;; [unrolled: 1-line block ×3, first 2 shown]
	v_add_f64 v[190:191], v[192:193], v[178:179]
	v_add_f64 v[194:195], v[176:177], v[180:181]
	v_add_f64 v[178:179], v[178:179], -v[192:193]
	v_add_f64 v[176:177], v[180:181], -v[176:177]
	v_add_f64 v[180:181], v[174:175], v[164:165]
	v_add_f64 v[192:193], v[188:189], v[166:167]
	v_add_f64 v[200:201], v[244:245], -v[214:215]
	v_add_f64 v[242:243], v[221:222], -v[242:243]
	v_add_f64 v[244:245], v[214:215], v[244:245]
	v_add_f64 v[196:197], v[174:175], -v[164:165]
	v_add_f64 v[214:215], v[188:189], -v[166:167]
	;; [unrolled: 1-line block ×6, first 2 shown]
	v_add_f64 v[188:189], v[178:179], v[182:183]
	v_add_f64 v[246:247], v[176:177], v[168:169]
	v_add_f64 v[248:249], v[178:179], -v[182:183]
	v_add_f64 v[250:251], v[176:177], -v[168:169]
	;; [unrolled: 1-line block ×4, first 2 shown]
	v_add_f64 v[180:181], v[190:191], v[180:181]
	v_add_f64 v[192:193], v[194:195], v[192:193]
	v_add_f64 v[178:179], v[170:171], -v[178:179]
	v_add_f64 v[176:177], v[172:173], -v[176:177]
	v_add_f64 v[170:171], v[188:189], v[170:171]
	v_add_f64 v[172:173], v[246:247], v[172:173]
	v_mul_f64 v[194:195], v[248:249], s[20:21]
	v_mul_f64 v[246:247], v[250:251], s[20:21]
	v_add_f64 v[188:189], v[160:161], v[180:181]
	v_add_f64 v[190:191], v[162:163], v[192:193]
	v_mul_f64 v[160:161], v[164:165], s[4:5]
	v_mul_f64 v[162:163], v[166:167], s[4:5]
	;; [unrolled: 1-line block ×6, first 2 shown]
	v_fma_f64 v[180:181], v[180:181], s[22:23], v[188:189]
	v_fma_f64 v[192:193], v[192:193], s[22:23], v[190:191]
	;; [unrolled: 1-line block ×4, first 2 shown]
	v_fma_f64 v[164:165], v[196:197], s[24:25], -v[164:165]
	v_fma_f64 v[166:167], v[214:215], s[24:25], -v[166:167]
	;; [unrolled: 1-line block ×4, first 2 shown]
	v_fma_f64 v[196:197], v[178:179], s[30:31], v[194:195]
	v_fma_f64 v[214:215], v[176:177], s[30:31], v[246:247]
	v_fma_f64 v[182:183], v[182:183], s[18:19], -v[194:195]
	v_fma_f64 v[168:169], v[168:169], s[18:19], -v[246:247]
	;; [unrolled: 1-line block ×4, first 2 shown]
	v_add_f64 v[174:175], v[174:175], v[180:181]
	v_add_f64 v[194:195], v[221:222], v[192:193]
	;; [unrolled: 1-line block ×6, first 2 shown]
	v_fma_f64 v[196:197], v[170:171], s[28:29], v[196:197]
	v_fma_f64 v[214:215], v[172:173], s[28:29], v[214:215]
	;; [unrolled: 1-line block ×6, first 2 shown]
	ds_write_b128 v217, v[184:187]
	ds_write_b128 v217, v[198:201] offset:2592
	ds_write_b128 v217, v[202:205] offset:5184
	;; [unrolled: 1-line block ×6, first 2 shown]
	v_add_f64 v[182:183], v[194:195], -v[196:197]
	v_add_f64 v[180:181], v[214:215], v[174:175]
	v_add_f64 v[162:163], v[246:247], v[166:167]
	v_add_f64 v[160:161], v[164:165], -v[168:169]
	v_add_f64 v[178:179], v[192:193], -v[170:171]
	v_add_f64 v[176:177], v[172:173], v[221:222]
	v_add_f64 v[164:165], v[168:169], v[164:165]
	v_add_f64 v[166:167], v[166:167], -v[246:247]
	v_add_f64 v[168:169], v[221:222], -v[172:173]
	v_add_f64 v[170:171], v[170:171], v[192:193]
	v_add_f64 v[172:173], v[174:175], -v[214:215]
	v_add_f64 v[174:175], v[196:197], v[194:195]
	s_and_saveexec_b64 s[4:5], s[2:3]
	s_cbranch_execz .LBB0_11
; %bb.10:
	ds_write_b128 v217, v[188:191] offset:2016
	ds_write_b128 v217, v[180:183] offset:4608
	ds_write_b128 v217, v[176:179] offset:7200
	ds_write_b128 v217, v[160:163] offset:9792
	ds_write_b128 v217, v[164:167] offset:12384
	ds_write_b128 v217, v[168:171] offset:14976
	ds_write_b128 v217, v[172:175] offset:17568
.LBB0_11:
	s_or_b64 exec, exec, s[4:5]
	v_mov_b32_e32 v184, s17
	v_addc_co_u32_e64 v200, vcc, 0, v184, s[6:7]
	s_movk_i32 s4, 0x46e0
	v_add_co_u32_e32 v184, vcc, s4, v218
	v_addc_co_u32_e32 v185, vcc, 0, v200, vcc
	s_movk_i32 s6, 0x4000
	v_add_co_u32_e32 v190, vcc, s6, v218
	v_addc_co_u32_e32 v191, vcc, 0, v200, vcc
	s_waitcnt lgkmcnt(0)
	s_barrier
	global_load_dwordx4 v[190:193], v[190:191], off offset:1760
	ds_read_b128 v[186:189], v217
	s_movk_i32 s4, 0x6000
	s_waitcnt vmcnt(0) lgkmcnt(0)
	v_mul_f64 v[194:195], v[188:189], v[192:193]
	v_fma_f64 v[194:195], v[186:187], v[190:191], -v[194:195]
	v_mul_f64 v[186:187], v[186:187], v[192:193]
	v_fma_f64 v[196:197], v[188:189], v[190:191], v[186:187]
	v_add_co_u32_e32 v190, vcc, s4, v218
	v_addc_co_u32_e32 v191, vcc, 0, v200, vcc
	global_load_dwordx4 v[190:193], v[190:191], off offset:2640
	ds_read_b128 v[186:189], v217 offset:9072
	s_movk_i32 s4, 0x7000
	ds_write_b128 v217, v[194:197]
	v_add_co_u32_e32 v198, vcc, s4, v218
	v_addc_co_u32_e32 v199, vcc, 0, v200, vcc
	s_movk_i32 s4, 0x5000
	s_waitcnt vmcnt(0) lgkmcnt(1)
	v_mul_f64 v[194:195], v[188:189], v[192:193]
	v_fma_f64 v[194:195], v[186:187], v[190:191], -v[194:195]
	v_mul_f64 v[186:187], v[186:187], v[192:193]
	v_fma_f64 v[196:197], v[188:189], v[190:191], v[186:187]
	global_load_dwordx4 v[190:193], v[184:185], off offset:2016
	ds_read_b128 v[186:189], v217 offset:2016
	ds_write_b128 v217, v[194:197] offset:9072
	s_waitcnt vmcnt(0) lgkmcnt(1)
	v_mul_f64 v[194:195], v[188:189], v[192:193]
	v_fma_f64 v[194:195], v[186:187], v[190:191], -v[194:195]
	v_mul_f64 v[186:187], v[186:187], v[192:193]
	v_fma_f64 v[196:197], v[188:189], v[190:191], v[186:187]
	global_load_dwordx4 v[190:193], v[198:199], off offset:560
	ds_read_b128 v[186:189], v217 offset:11088
	ds_write_b128 v217, v[194:197] offset:2016
	;; [unrolled: 8-line block ×4, first 2 shown]
	s_waitcnt vmcnt(0) lgkmcnt(1)
	v_mul_f64 v[194:195], v[188:189], v[192:193]
	v_fma_f64 v[194:195], v[186:187], v[190:191], -v[194:195]
	v_mul_f64 v[186:187], v[186:187], v[192:193]
	v_fma_f64 v[196:197], v[188:189], v[190:191], v[186:187]
	v_add_co_u32_e32 v190, vcc, s4, v218
	v_addc_co_u32_e32 v191, vcc, 0, v200, vcc
	global_load_dwordx4 v[190:193], v[190:191], off offset:3712
	ds_read_b128 v[186:189], v217 offset:6048
	s_mov_b32 s4, 0x8000
	ds_write_b128 v217, v[194:197] offset:13104
	s_waitcnt vmcnt(0) lgkmcnt(1)
	v_mul_f64 v[194:195], v[188:189], v[192:193]
	v_fma_f64 v[194:195], v[186:187], v[190:191], -v[194:195]
	v_mul_f64 v[186:187], v[186:187], v[192:193]
	v_fma_f64 v[196:197], v[188:189], v[190:191], v[186:187]
	v_add_co_u32_e32 v190, vcc, s4, v218
	v_addc_co_u32_e32 v191, vcc, 0, v200, vcc
	global_load_dwordx4 v[190:193], v[190:191], off offset:496
	ds_read_b128 v[186:189], v217 offset:15120
	ds_write_b128 v217, v[194:197] offset:6048
	s_waitcnt vmcnt(0) lgkmcnt(1)
	v_mul_f64 v[194:195], v[188:189], v[192:193]
	v_fma_f64 v[194:195], v[186:187], v[190:191], -v[194:195]
	v_mul_f64 v[186:187], v[186:187], v[192:193]
	v_fma_f64 v[196:197], v[188:189], v[190:191], v[186:187]
	ds_write_b128 v217, v[194:197] offset:15120
	s_and_saveexec_b64 s[4:5], s[0:1]
	s_cbranch_execz .LBB0_13
; %bb.12:
	v_add_co_u32_e32 v186, vcc, 0x1000, v184
	v_addc_co_u32_e32 v187, vcc, 0, v185, vcc
	v_add_co_u32_e32 v184, vcc, s6, v184
	global_load_dwordx4 v[186:189], v[186:187], off offset:3968
	v_addc_co_u32_e32 v185, vcc, 0, v185, vcc
	global_load_dwordx4 v[190:193], v[184:185], off offset:752
	ds_read_b128 v[194:197], v217 offset:8064
	ds_read_b128 v[198:201], v217 offset:17136
	s_waitcnt vmcnt(1) lgkmcnt(1)
	v_mul_f64 v[184:185], v[196:197], v[188:189]
	v_mul_f64 v[188:189], v[194:195], v[188:189]
	s_waitcnt vmcnt(0) lgkmcnt(0)
	v_mul_f64 v[202:203], v[200:201], v[192:193]
	v_mul_f64 v[192:193], v[198:199], v[192:193]
	v_fma_f64 v[184:185], v[194:195], v[186:187], -v[184:185]
	v_fma_f64 v[186:187], v[196:197], v[186:187], v[188:189]
	v_fma_f64 v[188:189], v[198:199], v[190:191], -v[202:203]
	v_fma_f64 v[190:191], v[200:201], v[190:191], v[192:193]
	ds_write_b128 v217, v[184:187] offset:8064
	ds_write_b128 v217, v[188:191] offset:17136
.LBB0_13:
	s_or_b64 exec, exec, s[4:5]
	s_waitcnt lgkmcnt(0)
	s_barrier
	ds_read_b128 v[188:191], v217
	ds_read_b128 v[192:195], v217 offset:2016
	ds_read_b128 v[212:215], v217 offset:9072
	;; [unrolled: 1-line block ×7, first 2 shown]
	v_add_u32_e32 v225, 0x2f40, v225
	s_and_saveexec_b64 s[4:5], s[0:1]
	s_cbranch_execz .LBB0_15
; %bb.14:
	ds_read_b128 v[180:183], v217 offset:8064
	ds_read_b128 v[176:179], v217 offset:17136
.LBB0_15:
	s_or_b64 exec, exec, s[4:5]
	s_waitcnt lgkmcnt(0)
	s_barrier
	buffer_load_dword v221, off, s[36:39], 0 offset:4 ; 4-byte Folded Reload
	v_add_f64 v[212:213], v[188:189], -v[212:213]
	v_add_f64 v[214:215], v[190:191], -v[214:215]
	v_add_f64 v[208:209], v[192:193], -v[208:209]
	v_add_f64 v[210:211], v[194:195], -v[210:211]
	v_add_f64 v[204:205], v[196:197], -v[204:205]
	v_add_f64 v[206:207], v[198:199], -v[206:207]
	v_add_f64 v[200:201], v[184:185], -v[200:201]
	v_add_f64 v[202:203], v[186:187], -v[202:203]
	v_fma_f64 v[188:189], v[188:189], 2.0, -v[212:213]
	v_fma_f64 v[190:191], v[190:191], 2.0, -v[214:215]
	v_add_f64 v[176:177], v[180:181], -v[176:177]
	v_add_f64 v[178:179], v[182:183], -v[178:179]
	v_fma_f64 v[192:193], v[192:193], 2.0, -v[208:209]
	v_fma_f64 v[194:195], v[194:195], 2.0, -v[210:211]
	;; [unrolled: 1-line block ×6, first 2 shown]
	s_waitcnt vmcnt(0)
	ds_write_b128 v221, v[188:191]
	ds_write_b128 v221, v[212:215] offset:16
	ds_write_b128 v223, v[192:195]
	ds_write_b128 v223, v[208:211] offset:16
	;; [unrolled: 2-line block ×4, first 2 shown]
	s_and_saveexec_b64 s[4:5], s[0:1]
	s_cbranch_execz .LBB0_17
; %bb.16:
	buffer_load_dword v184, off, s[36:39], 0 ; 4-byte Folded Reload
	v_fma_f64 v[182:183], v[182:183], 2.0, -v[178:179]
	v_fma_f64 v[180:181], v[180:181], 2.0, -v[176:177]
	s_waitcnt vmcnt(0)
	ds_write_b128 v184, v[180:183]
	ds_write_b128 v184, v[176:179] offset:16
.LBB0_17:
	s_or_b64 exec, exec, s[4:5]
	s_waitcnt lgkmcnt(0)
	s_barrier
	ds_read_b128 v[180:183], v217 offset:6048
	ds_read_b128 v[184:187], v217
	ds_read_b128 v[188:191], v217 offset:2016
	ds_read_b128 v[192:195], v217 offset:12096
	;; [unrolled: 1-line block ×4, first 2 shown]
	s_waitcnt lgkmcnt(5)
	v_mul_f64 v[221:222], v[38:39], v[182:183]
	v_mul_f64 v[223:224], v[38:39], v[180:181]
	s_waitcnt lgkmcnt(2)
	v_mul_f64 v[238:239], v[34:35], v[194:195]
	ds_read_b128 v[204:207], v217 offset:8064
	ds_read_b128 v[208:211], v217 offset:10080
	v_mul_f64 v[240:241], v[34:35], v[192:193]
	ds_read_b128 v[212:215], v217 offset:16128
	s_mov_b32 s4, 0xe8584caa
	v_fma_f64 v[180:181], v[36:37], v[180:181], v[221:222]
	s_waitcnt lgkmcnt(4)
	v_mul_f64 v[221:222], v[34:35], v[198:199]
	s_waitcnt lgkmcnt(2)
	v_mul_f64 v[242:243], v[38:39], v[206:207]
	v_fma_f64 v[192:193], v[32:33], v[192:193], v[238:239]
	v_fma_f64 v[182:183], v[36:37], v[182:183], -v[223:224]
	v_fma_f64 v[194:195], v[32:33], v[194:195], -v[240:241]
	v_mul_f64 v[223:224], v[34:35], v[196:197]
	v_mul_f64 v[244:245], v[38:39], v[204:205]
	s_waitcnt lgkmcnt(1)
	v_mul_f64 v[238:239], v[38:39], v[210:211]
	v_fma_f64 v[196:197], v[32:33], v[196:197], v[221:222]
	s_waitcnt lgkmcnt(0)
	v_mul_f64 v[221:222], v[34:35], v[214:215]
	v_fma_f64 v[204:205], v[36:37], v[204:205], v[242:243]
	v_mul_f64 v[38:39], v[38:39], v[208:209]
	v_add_f64 v[240:241], v[180:181], v[192:193]
	v_mul_f64 v[34:35], v[34:35], v[212:213]
	v_fma_f64 v[198:199], v[32:33], v[198:199], -v[223:224]
	v_add_f64 v[223:224], v[184:185], v[180:181]
	v_fma_f64 v[206:207], v[36:37], v[206:207], -v[244:245]
	v_fma_f64 v[212:213], v[32:33], v[212:213], v[221:222]
	v_add_f64 v[221:222], v[182:183], v[194:195]
	v_fma_f64 v[210:211], v[36:37], v[210:211], -v[38:39]
	v_fma_f64 v[38:39], v[240:241], -0.5, v[184:185]
	v_add_f64 v[184:185], v[182:183], -v[194:195]
	v_fma_f64 v[214:215], v[32:33], v[214:215], -v[34:35]
	v_add_f64 v[34:35], v[204:205], v[196:197]
	v_add_f64 v[182:183], v[186:187], v[182:183]
	v_fma_f64 v[208:209], v[36:37], v[208:209], v[238:239]
	v_add_f64 v[32:33], v[223:224], v[192:193]
	v_fma_f64 v[186:187], v[221:222], -0.5, v[186:187]
	v_add_f64 v[192:193], v[180:181], -v[192:193]
	v_add_f64 v[221:222], v[188:189], v[204:205]
	s_mov_b32 s5, 0xbfebb67a
	v_fma_f64 v[223:224], v[34:35], -0.5, v[188:189]
	v_add_f64 v[34:35], v[182:183], v[194:195]
	v_add_f64 v[194:195], v[206:207], v[198:199]
	s_mov_b32 s7, 0x3febb67a
	s_mov_b32 s6, s4
	v_add_f64 v[238:239], v[206:207], -v[198:199]
	v_fma_f64 v[36:37], v[184:185], s[4:5], v[38:39]
	v_fma_f64 v[180:181], v[184:185], s[6:7], v[38:39]
	;; [unrolled: 1-line block ×4, first 2 shown]
	v_add_f64 v[184:185], v[221:222], v[196:197]
	v_add_f64 v[186:187], v[208:209], v[212:213]
	;; [unrolled: 1-line block ×4, first 2 shown]
	v_fma_f64 v[194:195], v[194:195], -0.5, v[190:191]
	v_add_f64 v[196:197], v[204:205], -v[196:197]
	v_fma_f64 v[188:189], v[238:239], s[4:5], v[223:224]
	v_fma_f64 v[192:193], v[238:239], s[6:7], v[223:224]
	v_add_f64 v[204:205], v[200:201], v[208:209]
	v_add_f64 v[238:239], v[210:211], -v[214:215]
	v_add_f64 v[210:211], v[202:203], v[210:211]
	v_fma_f64 v[223:224], v[186:187], -0.5, v[200:201]
	v_fma_f64 v[221:222], v[221:222], -0.5, v[202:203]
	v_add_f64 v[208:209], v[208:209], -v[212:213]
	v_add_f64 v[186:187], v[206:207], v[198:199]
	v_fma_f64 v[190:191], v[196:197], s[6:7], v[194:195]
	v_fma_f64 v[194:195], v[196:197], s[4:5], v[194:195]
	v_add_f64 v[196:197], v[204:205], v[212:213]
	v_add_f64 v[198:199], v[210:211], v[214:215]
	v_fma_f64 v[200:201], v[238:239], s[4:5], v[223:224]
	v_fma_f64 v[204:205], v[238:239], s[6:7], v[223:224]
	;; [unrolled: 1-line block ×4, first 2 shown]
	s_barrier
	ds_write_b128 v228, v[32:35]
	ds_write_b128 v228, v[36:39] offset:32
	ds_write_b128 v228, v[180:183] offset:64
	ds_write_b128 v227, v[184:187]
	ds_write_b128 v227, v[188:191] offset:32
	ds_write_b128 v227, v[192:195] offset:64
	;; [unrolled: 3-line block ×3, first 2 shown]
	s_waitcnt lgkmcnt(0)
	s_barrier
	ds_read_b128 v[32:35], v217 offset:6048
	ds_read_b128 v[36:39], v217
	ds_read_b128 v[180:183], v217 offset:2016
	ds_read_b128 v[184:187], v217 offset:4032
	;; [unrolled: 1-line block ×4, first 2 shown]
	s_waitcnt lgkmcnt(5)
	v_mul_f64 v[208:209], v[58:59], v[34:35]
	v_mul_f64 v[58:59], v[58:59], v[32:33]
	ds_read_b128 v[196:199], v217 offset:8064
	ds_read_b128 v[200:203], v217 offset:10080
	s_waitcnt lgkmcnt(3)
	v_mul_f64 v[210:211], v[46:47], v[190:191]
	v_mul_f64 v[46:47], v[46:47], v[188:189]
	ds_read_b128 v[204:207], v217 offset:16128
	s_waitcnt lgkmcnt(0)
	s_barrier
	v_fma_f64 v[32:33], v[56:57], v[32:33], v[208:209]
	v_mul_f64 v[208:209], v[54:55], v[198:199]
	v_fma_f64 v[34:35], v[56:57], v[34:35], -v[58:59]
	v_mul_f64 v[56:57], v[42:43], v[194:195]
	v_mul_f64 v[42:43], v[42:43], v[192:193]
	v_fma_f64 v[58:59], v[44:45], v[188:189], v[210:211]
	v_fma_f64 v[44:45], v[44:45], v[190:191], -v[46:47]
	v_mul_f64 v[46:47], v[62:63], v[202:203]
	v_mul_f64 v[62:63], v[62:63], v[200:201]
	;; [unrolled: 1-line block ×3, first 2 shown]
	v_fma_f64 v[188:189], v[52:53], v[196:197], v[208:209]
	v_fma_f64 v[56:57], v[40:41], v[192:193], v[56:57]
	v_fma_f64 v[190:191], v[40:41], v[194:195], -v[42:43]
	v_mul_f64 v[40:41], v[50:51], v[206:207]
	v_mul_f64 v[42:43], v[50:51], v[204:205]
	v_fma_f64 v[46:47], v[60:61], v[200:201], v[46:47]
	v_fma_f64 v[50:51], v[60:61], v[202:203], -v[62:63]
	v_add_f64 v[62:63], v[36:37], v[32:33]
	v_fma_f64 v[54:55], v[52:53], v[198:199], -v[54:55]
	v_add_f64 v[52:53], v[32:33], v[58:59]
	v_add_f64 v[60:61], v[34:35], v[44:45]
	v_fma_f64 v[194:195], v[48:49], v[204:205], v[40:41]
	v_add_f64 v[40:41], v[188:189], v[56:57]
	v_add_f64 v[192:193], v[34:35], -v[44:45]
	v_fma_f64 v[196:197], v[48:49], v[206:207], -v[42:43]
	v_add_f64 v[34:35], v[38:39], v[34:35]
	v_add_f64 v[48:49], v[32:33], -v[58:59]
	v_add_f64 v[32:33], v[62:63], v[58:59]
	v_add_f64 v[58:59], v[180:181], v[188:189]
	v_fma_f64 v[52:53], v[52:53], -0.5, v[36:37]
	v_fma_f64 v[42:43], v[60:61], -0.5, v[38:39]
	v_fma_f64 v[60:61], v[40:41], -0.5, v[180:181]
	v_add_f64 v[62:63], v[54:55], -v[190:191]
	v_add_f64 v[180:181], v[54:55], v[190:191]
	v_add_f64 v[34:35], v[34:35], v[44:45]
	;; [unrolled: 1-line block ×5, first 2 shown]
	v_fma_f64 v[36:37], v[192:193], s[4:5], v[52:53]
	v_fma_f64 v[40:41], v[192:193], s[6:7], v[52:53]
	;; [unrolled: 1-line block ×6, first 2 shown]
	v_add_f64 v[60:61], v[50:51], v[196:197]
	v_fma_f64 v[62:63], v[180:181], -0.5, v[182:183]
	v_add_f64 v[56:57], v[188:189], -v[56:57]
	v_add_f64 v[180:181], v[184:185], v[46:47]
	v_fma_f64 v[58:59], v[58:59], -0.5, v[184:185]
	v_add_f64 v[182:183], v[50:51], -v[196:197]
	v_add_f64 v[184:185], v[186:187], v[50:51]
	v_add_f64 v[188:189], v[46:47], -v[194:195]
	v_fma_f64 v[186:187], v[60:61], -0.5, v[186:187]
	v_add_f64 v[46:47], v[54:55], v[190:191]
	v_fma_f64 v[50:51], v[56:57], s[6:7], v[62:63]
	v_fma_f64 v[54:55], v[56:57], s[4:5], v[62:63]
	v_add_f64 v[56:57], v[180:181], v[194:195]
	v_fma_f64 v[60:61], v[182:183], s[4:5], v[58:59]
	v_fma_f64 v[180:181], v[182:183], s[6:7], v[58:59]
	;; [unrolled: 3-line block ×3, first 2 shown]
	ds_write_b128 v232, v[32:35]
	ds_write_b128 v232, v[36:39] offset:96
	ds_write_b128 v232, v[40:43] offset:192
	ds_write_b128 v230, v[44:47]
	ds_write_b128 v230, v[48:51] offset:96
	ds_write_b128 v230, v[52:55] offset:192
	;; [unrolled: 3-line block ×3, first 2 shown]
	s_waitcnt lgkmcnt(0)
	s_barrier
	ds_read_b128 v[32:35], v217 offset:6048
	ds_read_b128 v[36:39], v217
	ds_read_b128 v[40:43], v217 offset:2016
	ds_read_b128 v[44:47], v217 offset:4032
	;; [unrolled: 1-line block ×4, first 2 shown]
	s_waitcnt lgkmcnt(5)
	v_mul_f64 v[184:185], v[70:71], v[34:35]
	ds_read_b128 v[56:59], v217 offset:8064
	ds_read_b128 v[60:63], v217 offset:10080
	v_mul_f64 v[70:71], v[70:71], v[32:33]
	s_waitcnt lgkmcnt(3)
	v_mul_f64 v[186:187], v[66:67], v[50:51]
	v_mul_f64 v[66:67], v[66:67], v[48:49]
	ds_read_b128 v[180:183], v217 offset:16128
	s_waitcnt lgkmcnt(0)
	s_barrier
	v_fma_f64 v[32:33], v[68:69], v[32:33], v[184:185]
	v_mul_f64 v[184:185], v[82:83], v[58:59]
	v_fma_f64 v[34:35], v[68:69], v[34:35], -v[70:71]
	v_mul_f64 v[68:69], v[82:83], v[56:57]
	v_mul_f64 v[70:71], v[74:75], v[54:55]
	v_fma_f64 v[48:49], v[64:65], v[48:49], v[186:187]
	v_mul_f64 v[74:75], v[74:75], v[52:53]
	v_fma_f64 v[50:51], v[64:65], v[50:51], -v[66:67]
	v_mul_f64 v[64:65], v[86:87], v[62:63]
	v_fma_f64 v[66:67], v[80:81], v[56:57], v[184:185]
	v_mul_f64 v[56:57], v[86:87], v[60:61]
	v_fma_f64 v[58:59], v[80:81], v[58:59], -v[68:69]
	v_fma_f64 v[68:69], v[72:73], v[52:53], v[70:71]
	v_add_f64 v[52:53], v[32:33], v[48:49]
	v_fma_f64 v[54:55], v[72:73], v[54:55], -v[74:75]
	v_mul_f64 v[70:71], v[78:79], v[182:183]
	v_fma_f64 v[60:61], v[84:85], v[60:61], v[64:65]
	v_mul_f64 v[64:65], v[78:79], v[180:181]
	v_fma_f64 v[62:63], v[84:85], v[62:63], -v[56:57]
	v_add_f64 v[56:57], v[34:35], v[50:51]
	v_add_f64 v[72:73], v[36:37], v[32:33]
	v_fma_f64 v[52:53], v[52:53], -0.5, v[36:37]
	v_add_f64 v[74:75], v[34:35], -v[50:51]
	v_add_f64 v[78:79], v[66:67], v[68:69]
	v_fma_f64 v[70:71], v[76:77], v[180:181], v[70:71]
	v_fma_f64 v[76:77], v[76:77], v[182:183], -v[64:65]
	v_add_f64 v[34:35], v[38:39], v[34:35]
	v_fma_f64 v[56:57], v[56:57], -0.5, v[38:39]
	v_add_f64 v[64:65], v[32:33], -v[48:49]
	v_add_f64 v[32:33], v[72:73], v[48:49]
	v_add_f64 v[72:73], v[40:41], v[66:67]
	v_fma_f64 v[36:37], v[74:75], s[4:5], v[52:53]
	v_fma_f64 v[48:49], v[74:75], s[6:7], v[52:53]
	v_add_f64 v[74:75], v[58:59], v[54:55]
	v_fma_f64 v[78:79], v[78:79], -0.5, v[40:41]
	v_add_f64 v[80:81], v[58:59], -v[54:55]
	v_add_f64 v[34:35], v[34:35], v[50:51]
	v_fma_f64 v[38:39], v[64:65], s[6:7], v[56:57]
	v_fma_f64 v[50:51], v[64:65], s[4:5], v[56:57]
	v_add_f64 v[40:41], v[72:73], v[68:69]
	v_add_f64 v[64:65], v[60:61], v[70:71]
	;; [unrolled: 1-line block ×4, first 2 shown]
	v_fma_f64 v[74:75], v[74:75], -0.5, v[42:43]
	v_add_f64 v[66:67], v[66:67], -v[68:69]
	v_fma_f64 v[52:53], v[80:81], s[4:5], v[78:79]
	v_fma_f64 v[56:57], v[80:81], s[6:7], v[78:79]
	v_add_f64 v[68:69], v[44:45], v[60:61]
	v_add_f64 v[78:79], v[62:63], -v[76:77]
	v_add_f64 v[62:63], v[46:47], v[62:63]
	v_fma_f64 v[64:65], v[64:65], -0.5, v[44:45]
	v_fma_f64 v[72:73], v[72:73], -0.5, v[46:47]
	v_add_f64 v[80:81], v[60:61], -v[70:71]
	v_add_f64 v[42:43], v[58:59], v[54:55]
	v_fma_f64 v[54:55], v[66:67], s[6:7], v[74:75]
	v_fma_f64 v[58:59], v[66:67], s[4:5], v[74:75]
	v_add_f64 v[44:45], v[68:69], v[70:71]
	v_add_f64 v[46:47], v[62:63], v[76:77]
	v_fma_f64 v[60:61], v[78:79], s[4:5], v[64:65]
	v_fma_f64 v[64:65], v[78:79], s[6:7], v[64:65]
	;; [unrolled: 1-line block ×4, first 2 shown]
	ds_write_b128 v234, v[32:35]
	ds_write_b128 v234, v[36:39] offset:288
	ds_write_b128 v234, v[48:51] offset:576
	ds_write_b128 v233, v[40:43]
	ds_write_b128 v233, v[52:55] offset:288
	ds_write_b128 v233, v[56:59] offset:576
	;; [unrolled: 3-line block ×3, first 2 shown]
	s_waitcnt lgkmcnt(0)
	s_barrier
	ds_read_b128 v[32:35], v217 offset:6048
	ds_read_b128 v[36:39], v217
	ds_read_b128 v[40:43], v217 offset:2016
	ds_read_b128 v[44:47], v217 offset:4032
	;; [unrolled: 1-line block ×4, first 2 shown]
	s_waitcnt lgkmcnt(5)
	v_mul_f64 v[68:69], v[94:95], v[34:35]
	ds_read_b128 v[56:59], v217 offset:8064
	ds_read_b128 v[60:63], v217 offset:10080
	v_mul_f64 v[70:71], v[94:95], v[32:33]
	s_waitcnt lgkmcnt(3)
	v_mul_f64 v[72:73], v[90:91], v[50:51]
	v_mul_f64 v[74:75], v[90:91], v[48:49]
	s_waitcnt lgkmcnt(2)
	v_mul_f64 v[76:77], v[98:99], v[54:55]
	ds_read_b128 v[64:67], v217 offset:16128
	s_waitcnt lgkmcnt(0)
	v_fma_f64 v[32:33], v[92:93], v[32:33], v[68:69]
	v_mul_f64 v[68:69], v[102:103], v[58:59]
	v_fma_f64 v[34:35], v[92:93], v[34:35], -v[70:71]
	v_fma_f64 v[48:49], v[88:89], v[48:49], v[72:73]
	v_mul_f64 v[72:73], v[98:99], v[52:53]
	v_mul_f64 v[70:71], v[102:103], v[56:57]
	v_fma_f64 v[50:51], v[88:89], v[50:51], -v[74:75]
	v_mul_f64 v[74:75], v[106:107], v[62:63]
	v_fma_f64 v[76:77], v[96:97], v[52:53], v[76:77]
	v_fma_f64 v[68:69], v[100:101], v[56:57], v[68:69]
	v_mul_f64 v[56:57], v[106:107], v[60:61]
	v_add_f64 v[52:53], v[32:33], v[48:49]
	v_fma_f64 v[72:73], v[96:97], v[54:55], -v[72:73]
	v_mul_f64 v[54:55], v[110:111], v[66:67]
	v_fma_f64 v[70:71], v[100:101], v[58:59], -v[70:71]
	v_mul_f64 v[58:59], v[110:111], v[64:65]
	v_fma_f64 v[74:75], v[104:105], v[60:61], v[74:75]
	v_add_f64 v[60:61], v[36:37], v[32:33]
	v_fma_f64 v[62:63], v[104:105], v[62:63], -v[56:57]
	v_add_f64 v[56:57], v[34:35], v[50:51]
	v_add_f64 v[78:79], v[34:35], -v[50:51]
	v_fma_f64 v[80:81], v[108:109], v[64:65], v[54:55]
	v_add_f64 v[54:55], v[68:69], v[76:77]
	v_add_f64 v[34:35], v[38:39], v[34:35]
	v_fma_f64 v[36:37], v[52:53], -0.5, v[36:37]
	v_fma_f64 v[82:83], v[108:109], v[66:67], -v[58:59]
	v_add_f64 v[32:33], v[32:33], -v[48:49]
	v_fma_f64 v[38:39], v[56:57], -0.5, v[38:39]
	v_add_f64 v[48:49], v[60:61], v[48:49]
	v_add_f64 v[60:61], v[40:41], v[68:69]
	v_fma_f64 v[64:65], v[54:55], -0.5, v[40:41]
	v_add_f64 v[66:67], v[70:71], -v[72:73]
	v_add_f64 v[50:51], v[34:35], v[50:51]
	v_add_f64 v[34:35], v[70:71], v[72:73]
	v_fma_f64 v[52:53], v[78:79], s[4:5], v[36:37]
	v_fma_f64 v[56:57], v[78:79], s[6:7], v[36:37]
	;; [unrolled: 1-line block ×4, first 2 shown]
	v_add_f64 v[32:33], v[74:75], v[80:81]
	v_add_f64 v[36:37], v[62:63], v[82:83]
	v_add_f64 v[38:39], v[42:43], v[70:71]
	v_add_f64 v[40:41], v[60:61], v[76:77]
	v_fma_f64 v[60:61], v[66:67], s[4:5], v[64:65]
	v_fma_f64 v[64:65], v[66:67], s[6:7], v[64:65]
	v_fma_f64 v[34:35], v[34:35], -0.5, v[42:43]
	v_add_f64 v[66:67], v[68:69], -v[76:77]
	v_add_f64 v[68:69], v[44:45], v[74:75]
	v_add_f64 v[78:79], v[46:47], v[62:63]
	v_fma_f64 v[70:71], v[32:33], -0.5, v[44:45]
	v_add_f64 v[76:77], v[62:63], -v[82:83]
	v_fma_f64 v[84:85], v[36:37], -0.5, v[46:47]
	v_add_f64 v[74:75], v[74:75], -v[80:81]
	v_add_f64 v[42:43], v[38:39], v[72:73]
	v_fma_f64 v[62:63], v[66:67], s[6:7], v[34:35]
	v_fma_f64 v[66:67], v[66:67], s[4:5], v[34:35]
	v_add_f64 v[44:45], v[68:69], v[80:81]
	v_add_f64 v[46:47], v[78:79], v[82:83]
	v_fma_f64 v[32:33], v[76:77], s[4:5], v[70:71]
	v_fma_f64 v[36:37], v[76:77], s[6:7], v[70:71]
	;; [unrolled: 1-line block ×4, first 2 shown]
	s_barrier
	ds_write_b128 v236, v[48:51]
	ds_write_b128 v236, v[52:55] offset:864
	ds_write_b128 v236, v[56:59] offset:1728
	ds_write_b128 v235, v[40:43]
	ds_write_b128 v235, v[60:63] offset:864
	ds_write_b128 v235, v[64:67] offset:1728
	;; [unrolled: 3-line block ×3, first 2 shown]
	s_waitcnt lgkmcnt(0)
	s_barrier
	ds_read_b128 v[40:43], v217
	ds_read_b128 v[64:67], v217 offset:2592
	ds_read_b128 v[60:63], v217 offset:5184
	;; [unrolled: 1-line block ×6, first 2 shown]
	s_and_saveexec_b64 s[4:5], s[2:3]
	s_cbranch_execz .LBB0_19
; %bb.18:
	ds_read_b128 v[32:35], v217 offset:2016
	ds_read_b128 v[36:39], v217 offset:4608
	;; [unrolled: 1-line block ×7, first 2 shown]
.LBB0_19:
	s_or_b64 exec, exec, s[4:5]
	s_waitcnt lgkmcnt(5)
	v_mul_f64 v[68:69], v[138:139], v[66:67]
	s_waitcnt lgkmcnt(4)
	v_mul_f64 v[74:75], v[134:135], v[60:61]
	v_mul_f64 v[70:71], v[138:139], v[64:65]
	;; [unrolled: 1-line block ×3, first 2 shown]
	s_waitcnt lgkmcnt(0)
	v_mul_f64 v[76:77], v[150:151], v[58:59]
	v_mul_f64 v[78:79], v[142:143], v[52:53]
	;; [unrolled: 1-line block ×4, first 2 shown]
	v_fma_f64 v[64:65], v[136:137], v[64:65], v[68:69]
	v_fma_f64 v[62:63], v[132:133], v[62:63], -v[74:75]
	v_mul_f64 v[68:69], v[150:151], v[56:57]
	v_mul_f64 v[74:75], v[142:143], v[54:55]
	v_fma_f64 v[66:67], v[136:137], v[66:67], -v[70:71]
	v_fma_f64 v[60:61], v[132:133], v[60:61], v[72:73]
	v_mul_f64 v[70:71], v[130:131], v[50:51]
	v_mul_f64 v[72:73], v[130:131], v[48:49]
	v_fma_f64 v[56:57], v[148:149], v[56:57], v[76:77]
	v_fma_f64 v[54:55], v[140:141], v[54:55], -v[78:79]
	v_fma_f64 v[58:59], v[148:149], v[58:59], -v[68:69]
	v_fma_f64 v[52:53], v[140:141], v[52:53], v[74:75]
	v_fma_f64 v[44:45], v[120:121], v[44:45], v[80:81]
	v_fma_f64 v[46:47], v[120:121], v[46:47], -v[82:83]
	v_fma_f64 v[48:49], v[128:129], v[48:49], v[70:71]
	v_fma_f64 v[50:51], v[128:129], v[50:51], -v[72:73]
	v_add_f64 v[68:69], v[64:65], v[56:57]
	v_add_f64 v[56:57], v[64:65], -v[56:57]
	v_add_f64 v[70:71], v[66:67], v[58:59]
	v_add_f64 v[58:59], v[66:67], -v[58:59]
	v_add_f64 v[64:65], v[60:61], v[52:53]
	v_add_f64 v[66:67], v[62:63], v[54:55]
	v_add_f64 v[52:53], v[60:61], -v[52:53]
	v_add_f64 v[54:55], v[62:63], -v[54:55]
	v_add_f64 v[60:61], v[48:49], v[44:45]
	v_add_f64 v[62:63], v[50:51], v[46:47]
	v_add_f64 v[44:45], v[44:45], -v[48:49]
	;; [unrolled: 4-line block ×3, first 2 shown]
	v_add_f64 v[74:75], v[66:67], -v[70:71]
	v_add_f64 v[68:69], v[68:69], -v[60:61]
	;; [unrolled: 1-line block ×5, first 2 shown]
	v_add_f64 v[76:77], v[44:45], v[52:53]
	v_add_f64 v[78:79], v[46:47], v[54:55]
	v_add_f64 v[80:81], v[44:45], -v[52:53]
	v_add_f64 v[82:83], v[46:47], -v[54:55]
	v_add_f64 v[48:49], v[60:61], v[48:49]
	v_add_f64 v[50:51], v[62:63], v[50:51]
	v_add_f64 v[52:53], v[52:53], -v[56:57]
	v_add_f64 v[54:55], v[54:55], -v[58:59]
	s_mov_b32 s16, 0x37e14327
	s_mov_b32 s6, 0x36b3c0b5
	;; [unrolled: 1-line block ×7, first 2 shown]
	v_add_f64 v[44:45], v[56:57], -v[44:45]
	v_add_f64 v[46:47], v[58:59], -v[46:47]
	v_add_f64 v[56:57], v[76:77], v[56:57]
	v_add_f64 v[58:59], v[78:79], v[58:59]
	;; [unrolled: 1-line block ×4, first 2 shown]
	v_mul_f64 v[60:61], v[68:69], s[16:17]
	v_mul_f64 v[62:63], v[70:71], s[16:17]
	;; [unrolled: 1-line block ×6, first 2 shown]
	s_mov_b32 s5, 0xbfebfeb5
	v_mul_f64 v[80:81], v[52:53], s[4:5]
	v_mul_f64 v[82:83], v[54:55], s[4:5]
	s_mov_b32 s26, 0xaaaaaaaa
	s_mov_b32 s14, 0x5476071b
	;; [unrolled: 1-line block ×8, first 2 shown]
	v_fma_f64 v[48:49], v[48:49], s[26:27], v[40:41]
	v_fma_f64 v[50:51], v[50:51], s[26:27], v[42:43]
	;; [unrolled: 1-line block ×4, first 2 shown]
	v_fma_f64 v[68:69], v[72:73], s[14:15], -v[68:69]
	v_fma_f64 v[70:71], v[74:75], s[14:15], -v[70:71]
	v_fma_f64 v[60:61], v[72:73], s[20:21], -v[60:61]
	v_fma_f64 v[62:63], v[74:75], s[20:21], -v[62:63]
	v_fma_f64 v[72:73], v[44:45], s[28:29], v[76:77]
	v_fma_f64 v[74:75], v[46:47], s[28:29], v[78:79]
	s_mov_b32 s25, 0x3fd5d0dc
	s_mov_b32 s24, s28
	v_fma_f64 v[44:45], v[44:45], s[24:25], -v[80:81]
	v_fma_f64 v[46:47], v[46:47], s[24:25], -v[82:83]
	;; [unrolled: 1-line block ×4, first 2 shown]
	s_mov_b32 s22, 0x37c3f68c
	s_mov_b32 s23, 0xbfdc38aa
	v_add_f64 v[64:65], v[64:65], v[48:49]
	v_add_f64 v[66:67], v[66:67], v[50:51]
	v_fma_f64 v[74:75], v[58:59], s[22:23], v[74:75]
	v_fma_f64 v[72:73], v[56:57], s[22:23], v[72:73]
	v_add_f64 v[60:61], v[60:61], v[48:49]
	v_add_f64 v[62:63], v[62:63], v[50:51]
	v_fma_f64 v[76:77], v[58:59], s[22:23], v[46:47]
	v_fma_f64 v[78:79], v[56:57], s[22:23], v[44:45]
	;; [unrolled: 4-line block ×3, first 2 shown]
	v_add_f64 v[44:45], v[74:75], v[64:65]
	v_add_f64 v[46:47], v[66:67], -v[72:73]
	v_add_f64 v[48:49], v[76:77], v[60:61]
	v_add_f64 v[50:51], v[62:63], -v[78:79]
	v_add_f64 v[60:61], v[60:61], -v[76:77]
	v_add_f64 v[62:63], v[78:79], v[62:63]
	v_add_f64 v[52:53], v[68:69], -v[58:59]
	v_add_f64 v[54:55], v[80:81], v[70:71]
	v_add_f64 v[56:57], v[58:59], v[68:69]
	v_add_f64 v[58:59], v[70:71], -v[80:81]
	v_add_f64 v[64:65], v[64:65], -v[74:75]
	v_add_f64 v[66:67], v[72:73], v[66:67]
	ds_write_b128 v217, v[40:43]
	ds_write_b128 v217, v[44:47] offset:2592
	ds_write_b128 v217, v[48:51] offset:5184
	;; [unrolled: 1-line block ×6, first 2 shown]
	s_and_saveexec_b64 s[30:31], s[2:3]
	s_cbranch_execz .LBB0_21
; %bb.20:
	v_mul_f64 v[48:49], v[154:155], v[172:173]
	v_mul_f64 v[50:51], v[146:147], v[36:37]
	;; [unrolled: 1-line block ×10, first 2 shown]
	v_fma_f64 v[48:49], v[152:153], v[174:175], -v[48:49]
	v_fma_f64 v[38:39], v[144:145], v[38:39], -v[50:51]
	v_mul_f64 v[50:51], v[118:119], v[160:161]
	v_mul_f64 v[60:61], v[114:115], v[164:165]
	v_fma_f64 v[52:53], v[156:157], v[170:171], -v[52:53]
	v_fma_f64 v[54:55], v[124:125], v[178:179], -v[54:55]
	v_fma_f64 v[40:41], v[112:113], v[164:165], v[40:41]
	v_fma_f64 v[42:43], v[116:117], v[160:161], v[42:43]
	;; [unrolled: 1-line block ×6, first 2 shown]
	v_fma_f64 v[46:47], v[116:117], v[162:163], -v[50:51]
	v_fma_f64 v[50:51], v[112:113], v[166:167], -v[60:61]
	v_add_f64 v[60:61], v[38:39], v[48:49]
	v_add_f64 v[62:63], v[54:55], v[52:53]
	v_add_f64 v[64:65], v[40:41], -v[42:43]
	v_add_f64 v[66:67], v[56:57], -v[58:59]
	v_add_f64 v[40:41], v[42:43], v[40:41]
	v_add_f64 v[72:73], v[36:37], -v[44:45]
	v_add_f64 v[36:37], v[36:37], v[44:45]
	v_add_f64 v[68:69], v[46:47], v[50:51]
	;; [unrolled: 1-line block ×4, first 2 shown]
	v_add_f64 v[46:47], v[50:51], -v[46:47]
	v_add_f64 v[74:75], v[64:65], -v[66:67]
	;; [unrolled: 1-line block ×6, first 2 shown]
	v_add_f64 v[76:77], v[44:45], v[36:37]
	v_add_f64 v[58:59], v[68:69], v[70:71]
	v_add_f64 v[70:71], v[72:73], -v[64:65]
	v_mul_f64 v[74:75], v[74:75], s[18:19]
	v_add_f64 v[64:65], v[64:65], v[66:67]
	v_add_f64 v[52:53], v[66:67], -v[72:73]
	v_add_f64 v[54:55], v[46:47], -v[50:51]
	v_mul_f64 v[42:43], v[56:57], s[16:17]
	v_add_f64 v[56:57], v[68:69], -v[62:63]
	v_add_f64 v[34:35], v[34:35], v[58:59]
	v_add_f64 v[68:69], v[40:41], v[76:77]
	v_fma_f64 v[76:77], v[70:71], s[28:29], v[74:75]
	v_add_f64 v[64:65], v[64:65], v[72:73]
	v_add_f64 v[60:61], v[62:63], -v[60:61]
	v_add_f64 v[80:81], v[50:51], -v[48:49]
	;; [unrolled: 1-line block ×3, first 2 shown]
	v_fma_f64 v[78:79], v[56:57], s[6:7], v[42:43]
	v_fma_f64 v[58:59], v[58:59], s[26:27], v[34:35]
	v_add_f64 v[32:33], v[32:33], v[68:69]
	v_mul_f64 v[62:63], v[38:39], s[16:17]
	v_fma_f64 v[66:67], v[64:65], s[22:23], v[76:77]
	v_mul_f64 v[76:77], v[52:53], s[4:5]
	v_mul_f64 v[54:55], v[54:55], s[18:19]
	;; [unrolled: 1-line block ×3, first 2 shown]
	v_fma_f64 v[42:43], v[60:61], s[20:21], -v[42:43]
	v_add_f64 v[72:73], v[78:79], v[58:59]
	v_add_f64 v[78:79], v[48:49], -v[46:47]
	v_add_f64 v[46:47], v[46:47], v[50:51]
	v_add_f64 v[36:37], v[44:45], -v[36:37]
	v_mul_f64 v[44:45], v[80:81], s[4:5]
	v_mul_f64 v[50:51], v[40:41], s[6:7]
	v_fma_f64 v[68:69], v[68:69], s[26:27], v[32:33]
	v_fma_f64 v[40:41], v[40:41], s[6:7], v[62:63]
	v_fma_f64 v[70:71], v[70:71], s[24:25], -v[76:77]
	v_fma_f64 v[76:77], v[78:79], s[28:29], v[54:55]
	v_add_f64 v[46:47], v[46:47], v[48:49]
	v_fma_f64 v[52:53], v[52:53], s[4:5], -v[74:75]
	v_fma_f64 v[48:49], v[60:61], s[14:15], -v[56:57]
	v_add_f64 v[60:61], v[42:43], v[58:59]
	v_fma_f64 v[42:43], v[36:37], s[20:21], -v[62:63]
	v_fma_f64 v[44:45], v[78:79], s[24:25], -v[44:45]
	;; [unrolled: 1-line block ×4, first 2 shown]
	v_fma_f64 v[56:57], v[64:65], s[22:23], v[70:71]
	v_fma_f64 v[52:53], v[64:65], s[22:23], v[52:53]
	v_add_f64 v[62:63], v[40:41], v[68:69]
	v_fma_f64 v[64:65], v[46:47], s[22:23], v[76:77]
	v_add_f64 v[48:49], v[48:49], v[58:59]
	v_add_f64 v[40:41], v[42:43], v[68:69]
	v_fma_f64 v[70:71], v[46:47], s[22:23], v[44:45]
	v_add_f64 v[36:37], v[36:37], v[68:69]
	v_fma_f64 v[44:45], v[46:47], s[22:23], v[50:51]
	v_add_f64 v[42:43], v[56:57], v[60:61]
	v_add_f64 v[54:55], v[60:61], -v[56:57]
	v_add_f64 v[58:59], v[72:73], -v[66:67]
	v_add_f64 v[56:57], v[64:65], v[62:63]
	v_add_f64 v[46:47], v[48:49], -v[52:53]
	v_add_f64 v[50:51], v[52:53], v[48:49]
	v_add_f64 v[52:53], v[70:71], v[40:41]
	v_add_f64 v[48:49], v[36:37], -v[44:45]
	v_add_f64 v[44:45], v[44:45], v[36:37]
	v_add_f64 v[40:41], v[40:41], -v[70:71]
	;; [unrolled: 2-line block ×3, first 2 shown]
	ds_write_b128 v217, v[32:35] offset:2016
	ds_write_b128 v217, v[56:59] offset:4608
	;; [unrolled: 1-line block ×7, first 2 shown]
.LBB0_21:
	s_or_b64 exec, exec, s[30:31]
	s_waitcnt lgkmcnt(0)
	s_barrier
	ds_read_b128 v[32:35], v217
	ds_read_b128 v[36:39], v217 offset:2016
	v_mad_u64_u32 v[44:45], s[2:3], s10, v216, 0
	v_mov_b32_e32 v50, s13
	s_waitcnt lgkmcnt(1)
	v_mul_f64 v[41:42], v[30:31], v[34:35]
	v_mul_f64 v[30:31], v[30:31], v[32:33]
	v_mov_b32_e32 v40, v45
	s_mul_hi_u32 s7, s8, 0xfffffe47
	s_mul_i32 s6, s9, 0xfffffe47
	s_sub_i32 s7, s7, s8
	s_add_i32 s7, s7, s6
	s_mul_i32 s6, s8, 0xfffffe47
	v_mad_u64_u32 v[45:46], s[2:3], s11, v216, v[40:41]
	v_mad_u64_u32 v[46:47], s[2:3], s8, v220, 0
	v_fma_f64 v[32:33], v[28:29], v[32:33], v[41:42]
	v_fma_f64 v[34:35], v[28:29], v[34:35], -v[30:31]
	v_mov_b32_e32 v28, v47
	v_mad_u64_u32 v[40:41], s[4:5], s9, v220, v[28:29]
	ds_read_b128 v[28:31], v217 offset:9072
	s_mov_b32 s2, 0x8eac7900
	v_mov_b32_e32 v47, v40
	ds_read_b128 v[40:43], v217 offset:11088
	s_mov_b32 s3, 0x3f4ce55c
	s_waitcnt lgkmcnt(1)
	v_mul_f64 v[48:49], v[26:27], v[30:31]
	v_mul_f64 v[26:27], v[26:27], v[28:29]
	v_mul_f64 v[32:33], v[32:33], s[2:3]
	v_mul_f64 v[34:35], v[34:35], s[2:3]
	v_lshlrev_b64 v[44:45], 4, v[44:45]
	s_mul_i32 s4, s9, 0x237
	v_add_co_u32_e32 v51, vcc, s12, v44
	v_fma_f64 v[28:29], v[24:25], v[28:29], v[48:49]
	v_fma_f64 v[26:27], v[24:25], v[30:31], -v[26:27]
	v_addc_co_u32_e32 v50, vcc, v50, v45, vcc
	v_lshlrev_b64 v[44:45], 4, v[46:47]
	s_mul_hi_u32 s5, s8, 0x237
	v_add_co_u32_e32 v30, vcc, v51, v44
	v_mul_f64 v[24:25], v[28:29], s[2:3]
	v_mul_f64 v[28:29], v[18:19], v[38:39]
	;; [unrolled: 1-line block ×4, first 2 shown]
	s_add_i32 s5, s5, s4
	s_mul_i32 s4, s8, 0x237
	v_addc_co_u32_e32 v31, vcc, v50, v45, vcc
	s_lshl_b64 s[4:5], s[4:5], 4
	v_fma_f64 v[28:29], v[16:17], v[36:37], v[28:29]
	v_fma_f64 v[18:19], v[16:17], v[38:39], -v[18:19]
	global_store_dwordx4 v[30:31], v[32:35], off
	v_mov_b32_e32 v38, s5
	v_add_co_u32_e32 v30, vcc, s4, v30
	v_addc_co_u32_e32 v31, vcc, v31, v38, vcc
	v_mul_f64 v[16:17], v[28:29], s[2:3]
	s_waitcnt lgkmcnt(0)
	v_mul_f64 v[28:29], v[14:15], v[42:43]
	v_mul_f64 v[14:15], v[14:15], v[40:41]
	global_store_dwordx4 v[30:31], v[24:27], off
	ds_read_b128 v[24:27], v217 offset:4032
	v_mul_f64 v[18:19], v[18:19], s[2:3]
	s_lshl_b64 s[6:7], s[6:7], 4
	v_mov_b32_e32 v39, s7
	v_add_co_u32_e32 v36, vcc, s6, v30
	v_fma_f64 v[28:29], v[12:13], v[40:41], v[28:29]
	v_fma_f64 v[32:33], v[12:13], v[42:43], -v[14:15]
	ds_read_b128 v[12:15], v217 offset:6048
	s_waitcnt lgkmcnt(1)
	v_mul_f64 v[34:35], v[2:3], v[26:27]
	v_mul_f64 v[2:3], v[2:3], v[24:25]
	v_addc_co_u32_e32 v37, vcc, v31, v39, vcc
	global_store_dwordx4 v[36:37], v[16:19], off
	v_fma_f64 v[24:25], v[0:1], v[24:25], v[34:35]
	v_mul_f64 v[16:17], v[28:29], s[2:3]
	ds_read_b128 v[28:31], v217 offset:13104
	v_mul_f64 v[18:19], v[32:33], s[2:3]
	v_fma_f64 v[26:27], v[0:1], v[26:27], -v[2:3]
	ds_read_b128 v[0:3], v217 offset:15120
	v_add_co_u32_e32 v34, vcc, s4, v36
	s_waitcnt lgkmcnt(1)
	v_mul_f64 v[32:33], v[6:7], v[30:31]
	v_mul_f64 v[6:7], v[6:7], v[28:29]
	v_addc_co_u32_e32 v35, vcc, v37, v38, vcc
	global_store_dwordx4 v[34:35], v[16:19], off
	v_fma_f64 v[6:7], v[4:5], v[30:31], -v[6:7]
	v_mul_f64 v[18:19], v[26:27], s[2:3]
	v_mul_f64 v[26:27], v[10:11], v[14:15]
	;; [unrolled: 1-line block ×4, first 2 shown]
	v_fma_f64 v[24:25], v[4:5], v[28:29], v[32:33]
	s_waitcnt lgkmcnt(0)
	v_mul_f64 v[28:29], v[22:23], v[2:3]
	v_mul_f64 v[22:23], v[22:23], v[0:1]
	;; [unrolled: 1-line block ×3, first 2 shown]
	v_add_co_u32_e32 v30, vcc, s6, v34
	v_fma_f64 v[12:13], v[8:9], v[12:13], v[26:27]
	v_fma_f64 v[8:9], v[8:9], v[14:15], -v[10:11]
	v_mul_f64 v[4:5], v[24:25], s[2:3]
	v_fma_f64 v[10:11], v[20:21], v[0:1], v[28:29]
	v_fma_f64 v[14:15], v[20:21], v[2:3], -v[22:23]
	v_addc_co_u32_e32 v31, vcc, v35, v39, vcc
	global_store_dwordx4 v[30:31], v[16:19], off
	v_mul_f64 v[0:1], v[12:13], s[2:3]
	v_add_co_u32_e32 v16, vcc, s4, v30
	v_mul_f64 v[2:3], v[8:9], s[2:3]
	v_addc_co_u32_e32 v17, vcc, v31, v38, vcc
	global_store_dwordx4 v[16:17], v[4:7], off
	v_add_co_u32_e32 v8, vcc, s6, v16
	v_mul_f64 v[4:5], v[10:11], s[2:3]
	v_mul_f64 v[6:7], v[14:15], s[2:3]
	v_addc_co_u32_e32 v9, vcc, v17, v39, vcc
	global_store_dwordx4 v[8:9], v[0:3], off
	s_nop 0
	v_add_co_u32_e32 v0, vcc, s4, v8
	v_addc_co_u32_e32 v1, vcc, v9, v38, vcc
	global_store_dwordx4 v[0:1], v[4:7], off
	s_and_b64 exec, exec, s[0:1]
	s_cbranch_execz .LBB0_23
; %bb.22:
	v_add_co_u32_e32 v2, vcc, 0x1000, v218
	v_addc_co_u32_e32 v3, vcc, 0, v219, vcc
	s_movk_i32 s0, 0x4000
	v_add_co_u32_e32 v6, vcc, s0, v218
	global_load_dwordx4 v[2:5], v[2:3], off offset:3968
	v_addc_co_u32_e32 v7, vcc, 0, v219, vcc
	global_load_dwordx4 v[6:9], v[6:7], off offset:752
	ds_read_b128 v[10:13], v217 offset:8064
	ds_read_b128 v[14:17], v217 offset:17136
	v_add_co_u32_e32 v0, vcc, s6, v0
	s_waitcnt vmcnt(1) lgkmcnt(1)
	v_mul_f64 v[18:19], v[12:13], v[4:5]
	v_mul_f64 v[4:5], v[10:11], v[4:5]
	s_waitcnt vmcnt(0) lgkmcnt(0)
	v_mul_f64 v[20:21], v[16:17], v[8:9]
	v_mul_f64 v[8:9], v[14:15], v[8:9]
	v_fma_f64 v[10:11], v[10:11], v[2:3], v[18:19]
	v_fma_f64 v[4:5], v[2:3], v[12:13], -v[4:5]
	v_fma_f64 v[12:13], v[14:15], v[6:7], v[20:21]
	v_fma_f64 v[8:9], v[6:7], v[16:17], -v[8:9]
	v_mov_b32_e32 v14, s7
	v_addc_co_u32_e32 v1, vcc, v1, v14, vcc
	v_mul_f64 v[2:3], v[10:11], s[2:3]
	v_mul_f64 v[4:5], v[4:5], s[2:3]
	v_mov_b32_e32 v15, s5
	v_mul_f64 v[6:7], v[12:13], s[2:3]
	v_mul_f64 v[8:9], v[8:9], s[2:3]
	v_add_co_u32_e32 v10, vcc, s4, v0
	v_addc_co_u32_e32 v11, vcc, v1, v15, vcc
	global_store_dwordx4 v[0:1], v[2:5], off
	global_store_dwordx4 v[10:11], v[6:9], off
.LBB0_23:
	s_endpgm
	.section	.rodata,"a",@progbits
	.p2align	6, 0x0
	.amdhsa_kernel bluestein_single_fwd_len1134_dim1_dp_op_CI_CI
		.amdhsa_group_segment_fixed_size 18144
		.amdhsa_private_segment_fixed_size 12
		.amdhsa_kernarg_size 104
		.amdhsa_user_sgpr_count 6
		.amdhsa_user_sgpr_private_segment_buffer 1
		.amdhsa_user_sgpr_dispatch_ptr 0
		.amdhsa_user_sgpr_queue_ptr 0
		.amdhsa_user_sgpr_kernarg_segment_ptr 1
		.amdhsa_user_sgpr_dispatch_id 0
		.amdhsa_user_sgpr_flat_scratch_init 0
		.amdhsa_user_sgpr_private_segment_size 0
		.amdhsa_uses_dynamic_stack 0
		.amdhsa_system_sgpr_private_segment_wavefront_offset 1
		.amdhsa_system_sgpr_workgroup_id_x 1
		.amdhsa_system_sgpr_workgroup_id_y 0
		.amdhsa_system_sgpr_workgroup_id_z 0
		.amdhsa_system_sgpr_workgroup_info 0
		.amdhsa_system_vgpr_workitem_id 0
		.amdhsa_next_free_vgpr 256
		.amdhsa_next_free_sgpr 40
		.amdhsa_reserve_vcc 1
		.amdhsa_reserve_flat_scratch 0
		.amdhsa_float_round_mode_32 0
		.amdhsa_float_round_mode_16_64 0
		.amdhsa_float_denorm_mode_32 3
		.amdhsa_float_denorm_mode_16_64 3
		.amdhsa_dx10_clamp 1
		.amdhsa_ieee_mode 1
		.amdhsa_fp16_overflow 0
		.amdhsa_exception_fp_ieee_invalid_op 0
		.amdhsa_exception_fp_denorm_src 0
		.amdhsa_exception_fp_ieee_div_zero 0
		.amdhsa_exception_fp_ieee_overflow 0
		.amdhsa_exception_fp_ieee_underflow 0
		.amdhsa_exception_fp_ieee_inexact 0
		.amdhsa_exception_int_div_zero 0
	.end_amdhsa_kernel
	.text
.Lfunc_end0:
	.size	bluestein_single_fwd_len1134_dim1_dp_op_CI_CI, .Lfunc_end0-bluestein_single_fwd_len1134_dim1_dp_op_CI_CI
                                        ; -- End function
	.section	.AMDGPU.csdata,"",@progbits
; Kernel info:
; codeLenInByte = 14268
; NumSgprs: 44
; NumVgprs: 256
; ScratchSize: 12
; MemoryBound: 0
; FloatMode: 240
; IeeeMode: 1
; LDSByteSize: 18144 bytes/workgroup (compile time only)
; SGPRBlocks: 5
; VGPRBlocks: 63
; NumSGPRsForWavesPerEU: 44
; NumVGPRsForWavesPerEU: 256
; Occupancy: 1
; WaveLimiterHint : 1
; COMPUTE_PGM_RSRC2:SCRATCH_EN: 1
; COMPUTE_PGM_RSRC2:USER_SGPR: 6
; COMPUTE_PGM_RSRC2:TRAP_HANDLER: 0
; COMPUTE_PGM_RSRC2:TGID_X_EN: 1
; COMPUTE_PGM_RSRC2:TGID_Y_EN: 0
; COMPUTE_PGM_RSRC2:TGID_Z_EN: 0
; COMPUTE_PGM_RSRC2:TIDIG_COMP_CNT: 0
	.type	__hip_cuid_c78b1f583c19b6d1,@object ; @__hip_cuid_c78b1f583c19b6d1
	.section	.bss,"aw",@nobits
	.globl	__hip_cuid_c78b1f583c19b6d1
__hip_cuid_c78b1f583c19b6d1:
	.byte	0                               ; 0x0
	.size	__hip_cuid_c78b1f583c19b6d1, 1

	.ident	"AMD clang version 19.0.0git (https://github.com/RadeonOpenCompute/llvm-project roc-6.4.0 25133 c7fe45cf4b819c5991fe208aaa96edf142730f1d)"
	.section	".note.GNU-stack","",@progbits
	.addrsig
	.addrsig_sym __hip_cuid_c78b1f583c19b6d1
	.amdgpu_metadata
---
amdhsa.kernels:
  - .args:
      - .actual_access:  read_only
        .address_space:  global
        .offset:         0
        .size:           8
        .value_kind:     global_buffer
      - .actual_access:  read_only
        .address_space:  global
        .offset:         8
        .size:           8
        .value_kind:     global_buffer
      - .actual_access:  read_only
        .address_space:  global
        .offset:         16
        .size:           8
        .value_kind:     global_buffer
      - .actual_access:  read_only
        .address_space:  global
        .offset:         24
        .size:           8
        .value_kind:     global_buffer
      - .actual_access:  read_only
        .address_space:  global
        .offset:         32
        .size:           8
        .value_kind:     global_buffer
      - .offset:         40
        .size:           8
        .value_kind:     by_value
      - .address_space:  global
        .offset:         48
        .size:           8
        .value_kind:     global_buffer
      - .address_space:  global
        .offset:         56
        .size:           8
        .value_kind:     global_buffer
      - .address_space:  global
        .offset:         64
        .size:           8
        .value_kind:     global_buffer
      - .address_space:  global
        .offset:         72
        .size:           8
        .value_kind:     global_buffer
      - .offset:         80
        .size:           4
        .value_kind:     by_value
      - .address_space:  global
        .offset:         88
        .size:           8
        .value_kind:     global_buffer
      - .address_space:  global
        .offset:         96
        .size:           8
        .value_kind:     global_buffer
    .group_segment_fixed_size: 18144
    .kernarg_segment_align: 8
    .kernarg_segment_size: 104
    .language:       OpenCL C
    .language_version:
      - 2
      - 0
    .max_flat_workgroup_size: 126
    .name:           bluestein_single_fwd_len1134_dim1_dp_op_CI_CI
    .private_segment_fixed_size: 12
    .sgpr_count:     44
    .sgpr_spill_count: 0
    .symbol:         bluestein_single_fwd_len1134_dim1_dp_op_CI_CI.kd
    .uniform_work_group_size: 1
    .uses_dynamic_stack: false
    .vgpr_count:     256
    .vgpr_spill_count: 2
    .wavefront_size: 64
amdhsa.target:   amdgcn-amd-amdhsa--gfx906
amdhsa.version:
  - 1
  - 2
...

	.end_amdgpu_metadata
